;; amdgpu-corpus repo=ROCm/rocFFT kind=compiled arch=gfx906 opt=O3
	.text
	.amdgcn_target "amdgcn-amd-amdhsa--gfx906"
	.amdhsa_code_object_version 6
	.protected	bluestein_single_fwd_len68_dim1_dp_op_CI_CI ; -- Begin function bluestein_single_fwd_len68_dim1_dp_op_CI_CI
	.globl	bluestein_single_fwd_len68_dim1_dp_op_CI_CI
	.p2align	8
	.type	bluestein_single_fwd_len68_dim1_dp_op_CI_CI,@function
bluestein_single_fwd_len68_dim1_dp_op_CI_CI: ; @bluestein_single_fwd_len68_dim1_dp_op_CI_CI
; %bb.0:
	s_mov_b64 s[62:63], s[2:3]
	v_mul_u32_u24_e32 v1, 0xf10, v0
	s_mov_b64 s[60:61], s[0:1]
	s_load_dwordx4 s[0:3], s[4:5], 0x28
	v_lshrrev_b32_e32 v1, 16, v1
	s_add_u32 s60, s60, s7
	v_mad_u64_u32 v[120:121], s[6:7], s6, 15, v[1:2]
	v_mov_b32_e32 v121, 0
	s_addc_u32 s61, s61, 0
	s_waitcnt lgkmcnt(0)
	v_cmp_gt_u64_e32 vcc, s[0:1], v[120:121]
	s_and_saveexec_b64 s[0:1], vcc
	s_cbranch_execz .LBB0_15
; %bb.1:
	s_mov_b32 s0, 0x88888889
	v_mul_hi_u32 v2, v120, s0
	s_load_dwordx2 s[6:7], s[4:5], 0x0
	s_load_dwordx2 s[12:13], s[4:5], 0x38
	v_mul_lo_u16_e32 v1, 17, v1
	v_sub_u16_e32 v253, v0, v1
	v_lshrrev_b32_e32 v2, 3, v2
	v_mul_lo_u32 v2, v2, 15
	v_cmp_gt_u16_e32 vcc, 4, v253
	v_lshlrev_b32_e32 v254, 4, v253
	v_sub_u32_e32 v0, v120, v2
	v_mul_u32_u24_e32 v255, 0x44, v0
	v_or_b32_e32 v0, v255, v253
	v_lshlrev_b32_e32 v0, 4, v0
	buffer_store_dword v0, off, s[60:63], 0 ; 4-byte Folded Spill
	s_and_saveexec_b64 s[14:15], vcc
	s_cbranch_execz .LBB0_3
; %bb.2:
	s_load_dwordx2 s[0:1], s[4:5], 0x18
	v_or_b32_e32 v41, 4, v253
	v_or_b32_e32 v43, 8, v253
	;; [unrolled: 1-line block ×4, first 2 shown]
	s_waitcnt lgkmcnt(0)
	s_load_dwordx4 s[8:11], s[0:1], 0x0
	v_or_b32_e32 v46, 20, v253
	v_or_b32_e32 v47, 24, v253
	;; [unrolled: 1-line block ×4, first 2 shown]
	s_waitcnt lgkmcnt(0)
	v_mad_u64_u32 v[0:1], s[0:1], s10, v120, 0
	v_mad_u64_u32 v[2:3], s[0:1], s8, v253, 0
	v_or_b32_e32 v72, 36, v253
	v_or_b32_e32 v80, 40, v253
	v_mad_u64_u32 v[4:5], s[0:1], s11, v120, v[1:2]
	v_or_b32_e32 v88, 44, v253
	v_or_b32_e32 v96, 48, v253
	v_mad_u64_u32 v[5:6], s[0:1], s9, v253, v[3:4]
	v_mov_b32_e32 v1, v4
	v_lshlrev_b64 v[0:1], 4, v[0:1]
	v_mov_b32_e32 v3, v5
	v_mov_b32_e32 v6, s3
	v_lshlrev_b64 v[2:3], 4, v[2:3]
	v_add_co_u32_e64 v50, s[0:1], s2, v0
	v_addc_co_u32_e64 v51, s[0:1], v6, v1, s[0:1]
	v_add_co_u32_e64 v28, s[0:1], v50, v2
	v_addc_co_u32_e64 v29, s[0:1], v51, v3, s[0:1]
	global_load_dwordx4 v[0:3], v[28:29], off
	global_load_dwordx4 v[4:7], v254, s[6:7]
	global_load_dwordx4 v[8:11], v254, s[6:7] offset:64
	global_load_dwordx4 v[12:15], v254, s[6:7] offset:128
	;; [unrolled: 1-line block ×5, first 2 shown]
	v_mad_u64_u32 v[28:29], s[0:1], s8, v41, 0
	v_mad_u64_u32 v[30:31], s[0:1], s8, v43, 0
	;; [unrolled: 1-line block ×11, first 2 shown]
	v_mov_b32_e32 v29, v41
	v_mov_b32_e32 v40, v53
	v_mad_u64_u32 v[45:46], s[0:1], s9, v46, v[37:38]
	v_lshlrev_b64 v[28:29], 4, v[28:29]
	v_mad_u64_u32 v[46:47], s[0:1], s9, v47, v[39:40]
	v_mad_u64_u32 v[53:54], s[0:1], s9, v48, v[40:41]
	v_mov_b32_e32 v31, v42
	v_lshlrev_b64 v[30:31], 4, v[30:31]
	v_add_co_u32_e64 v48, s[0:1], v50, v28
	v_mov_b32_e32 v33, v43
	v_addc_co_u32_e64 v49, s[0:1], v51, v29, s[0:1]
	v_lshlrev_b64 v[32:33], 4, v[32:33]
	v_add_co_u32_e64 v56, s[0:1], v50, v30
	v_mov_b32_e32 v35, v44
	v_addc_co_u32_e64 v57, s[0:1], v51, v31, s[0:1]
	;; [unrolled: 4-line block ×4, first 2 shown]
	v_lshlrev_b64 v[54:55], 4, v[38:39]
	v_add_co_u32_e64 v62, s[0:1], v50, v36
	v_addc_co_u32_e64 v63, s[0:1], v51, v37, s[0:1]
	global_load_dwordx4 v[44:47], v[48:49], off
	global_load_dwordx4 v[40:43], v[56:57], off
	global_load_dwordx4 v[36:39], v[58:59], off
	global_load_dwordx4 v[32:35], v[60:61], off
	global_load_dwordx4 v[28:31], v[62:63], off
	v_add_co_u32_e64 v60, s[0:1], v50, v54
	v_addc_co_u32_e64 v61, s[0:1], v51, v55, s[0:1]
	v_mad_u64_u32 v[68:69], s[0:1], s8, v64, 0
	v_lshlrev_b64 v[52:53], 4, v[52:53]
	v_or_b32_e32 v104, 52, v253
	v_add_co_u32_e64 v62, s[0:1], v50, v52
	v_addc_co_u32_e64 v63, s[0:1], v51, v53, s[0:1]
	global_load_dwordx4 v[52:55], v[60:61], off
	global_load_dwordx4 v[56:59], v[62:63], off
	v_mov_b32_e32 v60, v69
	v_mad_u64_u32 v[69:70], s[0:1], s9, v64, v[60:61]
	v_mad_u64_u32 v[70:71], s[0:1], s8, v72, 0
	v_lshlrev_b64 v[68:69], 4, v[68:69]
	global_load_dwordx4 v[60:63], v254, s[6:7] offset:384
	global_load_dwordx4 v[64:67], v254, s[6:7] offset:448
	v_mad_u64_u32 v[71:72], s[0:1], s9, v72, v[71:72]
	v_add_co_u32_e64 v76, s[0:1], v50, v68
	v_addc_co_u32_e64 v77, s[0:1], v51, v69, s[0:1]
	v_mad_u64_u32 v[84:85], s[0:1], s8, v80, 0
	v_lshlrev_b64 v[68:69], 4, v[70:71]
	v_or_b32_e32 v109, 56, v253
	v_add_co_u32_e64 v78, s[0:1], v50, v68
	v_addc_co_u32_e64 v79, s[0:1], v51, v69, s[0:1]
	global_load_dwordx4 v[68:71], v[76:77], off
	global_load_dwordx4 v[72:75], v[78:79], off
	v_mov_b32_e32 v76, v85
	v_mad_u64_u32 v[85:86], s[0:1], s9, v80, v[76:77]
	v_mad_u64_u32 v[86:87], s[0:1], s8, v88, 0
	v_lshlrev_b64 v[84:85], 4, v[84:85]
	global_load_dwordx4 v[76:79], v254, s[6:7] offset:512
	global_load_dwordx4 v[80:83], v254, s[6:7] offset:576
	v_mad_u64_u32 v[87:88], s[0:1], s9, v88, v[87:88]
	v_add_co_u32_e64 v92, s[0:1], v50, v84
	v_addc_co_u32_e64 v93, s[0:1], v51, v85, s[0:1]
	v_mad_u64_u32 v[100:101], s[0:1], s8, v96, 0
	v_lshlrev_b64 v[84:85], 4, v[86:87]
	v_or_b32_e32 v121, 60, v253
	v_add_co_u32_e64 v94, s[0:1], v50, v84
	v_addc_co_u32_e64 v95, s[0:1], v51, v85, s[0:1]
	global_load_dwordx4 v[84:87], v[92:93], off
	global_load_dwordx4 v[88:91], v[94:95], off
	v_mov_b32_e32 v92, v101
	v_mad_u64_u32 v[101:102], s[0:1], s9, v96, v[92:93]
	v_mad_u64_u32 v[102:103], s[0:1], s8, v104, 0
	v_lshlrev_b64 v[100:101], 4, v[100:101]
	v_or_b32_e32 v123, 64, v253
	v_mad_u64_u32 v[103:104], s[0:1], s9, v104, v[103:104]
	v_add_co_u32_e64 v100, s[0:1], v50, v100
	v_addc_co_u32_e64 v101, s[0:1], v51, v101, s[0:1]
	v_mad_u64_u32 v[116:117], s[0:1], s8, v109, 0
	v_lshlrev_b64 v[102:103], 4, v[102:103]
	s_waitcnt vmcnt(20)
	v_mul_f64 v[48:49], v[2:3], v[6:7]
	v_add_co_u32_e64 v104, s[0:1], v50, v102
	v_mov_b32_e32 v108, v117
	v_addc_co_u32_e64 v105, s[0:1], v51, v103, s[0:1]
	v_mad_u64_u32 v[117:118], s[0:1], s9, v109, v[108:109]
	v_mad_u64_u32 v[118:119], s[0:1], s8, v121, 0
	v_lshlrev_b64 v[116:117], 4, v[116:117]
	v_mul_f64 v[6:7], v[0:1], v[6:7]
	v_mad_u64_u32 v[121:122], s[0:1], s9, v121, v[119:120]
	v_add_co_u32_e64 v116, s[0:1], v50, v116
	v_addc_co_u32_e64 v117, s[0:1], v51, v117, s[0:1]
	v_mad_u64_u32 v[133:134], s[0:1], s8, v123, 0
	v_mov_b32_e32 v119, v121
	v_lshlrev_b64 v[118:119], 4, v[118:119]
	global_load_dwordx4 v[92:95], v254, s[6:7] offset:640
	global_load_dwordx4 v[96:99], v254, s[6:7] offset:704
	v_add_co_u32_e64 v121, s[0:1], v50, v118
	v_mov_b32_e32 v118, v134
	v_addc_co_u32_e64 v122, s[0:1], v51, v119, s[0:1]
	v_mad_u64_u32 v[134:135], s[0:1], s9, v123, v[118:119]
	global_load_dwordx4 v[100:103], v[100:101], off
	s_nop 0
	global_load_dwordx4 v[104:107], v[104:105], off
	s_nop 0
	global_load_dwordx4 v[108:111], v254, s[6:7] offset:768
	global_load_dwordx4 v[112:115], v254, s[6:7] offset:832
	v_lshlrev_b64 v[133:134], 4, v[133:134]
	global_load_dwordx4 v[116:119], v[116:117], off
	s_nop 0
	global_load_dwordx4 v[121:124], v[121:122], off
	s_nop 0
	global_load_dwordx4 v[125:128], v254, s[6:7] offset:896
	global_load_dwordx4 v[129:132], v254, s[6:7] offset:960
	v_add_co_u32_e64 v50, s[0:1], v50, v133
	v_addc_co_u32_e64 v51, s[0:1], v51, v134, s[0:1]
	global_load_dwordx4 v[133:136], v[50:51], off
	global_load_dwordx4 v[137:140], v254, s[6:7] offset:1024
	v_fma_f64 v[2:3], v[2:3], v[4:5], -v[6:7]
	buffer_load_dword v6, off, s[60:63], 0  ; 4-byte Folded Reload
	v_fma_f64 v[0:1], v[0:1], v[4:5], v[48:49]
	s_waitcnt vmcnt(27)
	v_mul_f64 v[4:5], v[46:47], v[10:11]
	s_waitcnt vmcnt(0)
	ds_write_b128 v6, v[0:3]
	v_fma_f64 v[0:1], v[44:45], v[8:9], v[4:5]
	v_mul_f64 v[2:3], v[44:45], v[10:11]
	v_mul_f64 v[4:5], v[42:43], v[14:15]
	;; [unrolled: 1-line block ×7, first 2 shown]
	v_lshl_add_u32 v44, v255, 4, v254
	v_fma_f64 v[2:3], v[46:47], v[8:9], -v[2:3]
	v_fma_f64 v[4:5], v[40:41], v[12:13], v[4:5]
	v_fma_f64 v[6:7], v[42:43], v[12:13], -v[6:7]
	v_fma_f64 v[8:9], v[36:37], v[16:17], v[10:11]
	;; [unrolled: 2-line block ×3, first 2 shown]
	v_mul_f64 v[16:17], v[30:31], v[26:27]
	v_mul_f64 v[18:19], v[28:29], v[26:27]
	v_fma_f64 v[14:15], v[34:35], v[20:21], -v[22:23]
	v_mul_f64 v[20:21], v[54:55], v[62:63]
	v_mul_f64 v[22:23], v[52:53], v[62:63]
	;; [unrolled: 1-line block ×6, first 2 shown]
	v_fma_f64 v[16:17], v[28:29], v[24:25], v[16:17]
	v_fma_f64 v[18:19], v[30:31], v[24:25], -v[18:19]
	v_fma_f64 v[20:21], v[52:53], v[60:61], v[20:21]
	v_fma_f64 v[22:23], v[54:55], v[60:61], -v[22:23]
	;; [unrolled: 2-line block ×4, first 2 shown]
	ds_write_b128 v44, v[0:3] offset:64
	ds_write_b128 v44, v[4:7] offset:128
	;; [unrolled: 1-line block ×8, first 2 shown]
	v_mul_f64 v[0:1], v[74:75], v[82:83]
	v_mul_f64 v[2:3], v[72:73], v[82:83]
	;; [unrolled: 1-line block ×16, first 2 shown]
	v_fma_f64 v[0:1], v[72:73], v[80:81], v[0:1]
	v_fma_f64 v[2:3], v[74:75], v[80:81], -v[2:3]
	v_fma_f64 v[4:5], v[84:85], v[92:93], v[4:5]
	v_fma_f64 v[6:7], v[86:87], v[92:93], -v[6:7]
	;; [unrolled: 2-line block ×8, first 2 shown]
	ds_write_b128 v44, v[0:3] offset:576
	ds_write_b128 v44, v[4:7] offset:640
	;; [unrolled: 1-line block ×8, first 2 shown]
.LBB0_3:
	s_or_b64 exec, exec, s[14:15]
	s_load_dwordx2 s[0:1], s[4:5], 0x20
	s_load_dwordx2 s[8:9], s[4:5], 0x8
	v_lshlrev_b32_e32 v0, 4, v255
	s_waitcnt vmcnt(0) lgkmcnt(0)
	s_barrier
	buffer_store_dword v0, off, s[60:63], 0 offset:4 ; 4-byte Folded Spill
                                        ; implicit-def: $vgpr50_vgpr51
                                        ; implicit-def: $vgpr46_vgpr47
                                        ; implicit-def: $vgpr42_vgpr43
                                        ; implicit-def: $vgpr38_vgpr39
                                        ; implicit-def: $vgpr34_vgpr35
                                        ; implicit-def: $vgpr30_vgpr31
                                        ; implicit-def: $vgpr26_vgpr27
                                        ; implicit-def: $vgpr78_vgpr79
                                        ; implicit-def: $vgpr82_vgpr83
                                        ; implicit-def: $vgpr94_vgpr95
                                        ; implicit-def: $vgpr74_vgpr75
                                        ; implicit-def: $vgpr56_vgpr57
                                        ; implicit-def: $vgpr60_vgpr61
                                        ; implicit-def: $vgpr64_vgpr65
                                        ; implicit-def: $vgpr68_vgpr69
                                        ; implicit-def: $vgpr96_vgpr97
                                        ; implicit-def: $vgpr88_vgpr89
	s_and_saveexec_b64 s[2:3], vcc
	s_cbranch_execz .LBB0_5
; %bb.4:
	v_lshlrev_b32_e32 v0, 4, v255
	v_lshl_add_u32 v0, v253, 4, v0
	ds_read_b128 v[88:91], v0 offset:64
	ds_read_b128 v[96:99], v0 offset:128
	;; [unrolled: 1-line block ×16, first 2 shown]
	buffer_load_dword v0, off, s[60:63], 0  ; 4-byte Folded Reload
	s_waitcnt vmcnt(0)
	ds_read_b128 v[72:75], v0
.LBB0_5:
	s_or_b64 exec, exec, s[2:3]
	s_waitcnt lgkmcnt(1)
	v_add_f64 v[2:3], v[90:91], -v[70:71]
	s_mov_b32 s4, 0x5d8e7cdc
	s_mov_b32 s5, 0xbfd71e95
	v_add_f64 v[0:1], v[88:89], -v[68:69]
	s_mov_b32 s50, 0x2a9d6da3
	s_mov_b32 s51, 0xbfe58eea
	v_add_f64 v[127:128], v[68:69], v[88:89]
	v_add_f64 v[155:156], v[98:99], -v[66:67]
	v_mul_f64 v[4:5], v[2:3], s[4:5]
	v_mul_f64 v[8:9], v[2:3], s[50:51]
	s_mov_b32 s2, 0x370991
	v_mul_f64 v[6:7], v[0:1], s[4:5]
	s_mov_b32 s3, 0x3fedd6d0
	v_add_f64 v[129:130], v[70:71], v[90:91]
	v_add_f64 v[137:138], v[64:65], v[96:97]
	v_add_f64 v[153:154], v[96:97], -v[64:65]
	buffer_store_dword v4, off, s[60:63], 0 offset:8 ; 4-byte Folded Spill
	s_nop 0
	buffer_store_dword v5, off, s[60:63], 0 offset:12 ; 4-byte Folded Spill
	buffer_store_dword v6, off, s[60:63], 0 offset:16 ; 4-byte Folded Spill
	s_nop 0
	buffer_store_dword v7, off, s[60:63], 0 offset:20 ; 4-byte Folded Spill
	;; [unrolled: 3-line block ×3, first 2 shown]
	v_mul_f64 v[141:142], v[155:156], s[50:51]
	s_mov_b32 s24, 0x75d4884
	s_mov_b32 s25, 0x3fe7a5f6
	v_add_f64 v[139:140], v[66:67], v[98:99]
	v_mul_f64 v[143:144], v[153:154], s[50:51]
	s_mov_b32 s14, 0xeb564b22
	s_mov_b32 s15, 0xbfefdd0d
	v_mul_f64 v[131:132], v[0:1], s[50:51]
	v_fma_f64 v[145:146], v[137:138], s[24:25], v[141:142]
	s_mov_b32 s16, 0x3259b75e
	s_mov_b32 s17, 0x3fb79ee6
	v_mul_f64 v[147:148], v[153:154], s[14:15]
	s_mov_b32 s48, 0x7c9e640b
	s_mov_b32 s49, 0xbfeca52d
	v_mul_f64 v[133:134], v[2:3], s[48:49]
	v_fma_f64 v[10:11], v[129:130], s[24:25], -v[131:132]
	s_mov_b32 s10, 0x2b2883cd
	s_mov_b32 s34, 0x6c9a05f6
	;; [unrolled: 1-line block ×4, first 2 shown]
	v_mul_f64 v[135:136], v[0:1], s[48:49]
	s_mov_b32 s36, 0x6ed5f1bb
	v_fma_f64 v[12:13], v[127:128], s[10:11], v[133:134]
	s_waitcnt lgkmcnt(0)
	v_add_f64 v[10:11], v[74:75], v[10:11]
	s_mov_b32 s37, 0xbfe348c8
	v_mul_f64 v[151:152], v[153:154], s[34:35]
	v_mul_f64 v[16:17], v[2:3], s[14:15]
	s_mov_b32 s30, 0xacd6c6b4
	v_fma_f64 v[14:15], v[129:130], s[10:11], -v[135:136]
	s_mov_b32 s31, 0xbfc7851a
	v_add_f64 v[12:13], v[72:73], v[12:13]
	s_mov_b32 s28, 0x7faef3
	s_mov_b32 s29, 0xbfef7484
	v_mul_f64 v[20:21], v[0:1], s[14:15]
	v_fma_f64 v[18:19], v[127:128], s[16:17], -v[16:17]
	v_fma_f64 v[16:17], v[127:128], s[16:17], v[16:17]
	v_add_f64 v[14:15], v[74:75], v[14:15]
	s_mov_b32 s26, 0x923c349f
	s_mov_b32 s27, 0xbfeec746
	v_mul_f64 v[52:53], v[2:3], s[26:27]
	s_mov_b32 s18, 0xc61f0d01
	v_fma_f64 v[22:23], v[129:130], s[16:17], v[20:21]
	v_add_f64 v[18:19], v[72:73], v[18:19]
	v_add_f64 v[16:17], v[72:73], v[16:17]
	v_fma_f64 v[20:21], v[129:130], s[16:17], -v[20:21]
	s_mov_b32 s20, 0x4363dd80
	s_mov_b32 s19, 0xbfd183b1
	;; [unrolled: 1-line block ×5, first 2 shown]
	v_fma_f64 v[54:55], v[127:128], s[18:19], -v[52:53]
	s_mov_b32 s22, 0x910ea3b9
	v_add_f64 v[20:21], v[74:75], v[20:21]
	s_mov_b32 s23, 0xbfeb34fa
	v_mul_f64 v[84:85], v[0:1], s[26:27]
	v_fma_f64 v[52:53], v[127:128], s[18:19], v[52:53]
	v_mul_f64 v[100:101], v[2:3], s[34:35]
	s_mov_b32 s45, 0x3feec746
	v_add_f64 v[54:55], v[72:73], v[54:55]
	s_mov_b32 s44, s26
	v_add_f64 v[22:23], v[74:75], v[22:23]
	v_mul_f64 v[104:105], v[0:1], s[34:35]
	v_fma_f64 v[86:87], v[129:130], s[18:19], v[84:85]
	v_add_f64 v[52:53], v[72:73], v[52:53]
	v_fma_f64 v[84:85], v[129:130], s[18:19], -v[84:85]
	v_fma_f64 v[102:103], v[127:128], s[36:37], -v[100:101]
	v_fma_f64 v[100:101], v[127:128], s[36:37], v[100:101]
	v_mul_f64 v[108:109], v[2:3], s[20:21]
	s_mov_b32 s41, 0x3feca52d
	v_fma_f64 v[106:107], v[129:130], s[36:37], v[104:105]
	v_fma_f64 v[104:105], v[129:130], s[36:37], -v[104:105]
	s_mov_b32 s40, s48
	v_add_f64 v[84:85], v[74:75], v[84:85]
	v_add_f64 v[102:103], v[72:73], v[102:103]
	v_fma_f64 v[4:5], v[127:128], s[2:3], v[4:5]
	v_add_f64 v[100:101], v[72:73], v[100:101]
	v_add_f64 v[86:87], v[74:75], v[86:87]
	v_fma_f64 v[6:7], v[129:130], s[2:3], -v[6:7]
	v_fma_f64 v[8:9], v[127:128], s[24:25], v[8:9]
	v_add_f64 v[104:105], v[74:75], v[104:105]
	v_fma_f64 v[110:111], v[127:128], s[22:23], -v[108:109]
	v_mul_f64 v[112:113], v[0:1], s[20:21]
	v_add_f64 v[4:5], v[72:73], v[4:5]
	v_fma_f64 v[108:109], v[127:128], s[22:23], v[108:109]
	v_mul_f64 v[2:3], v[2:3], s[30:31]
	v_add_f64 v[6:7], v[74:75], v[6:7]
	v_add_f64 v[8:9], v[72:73], v[8:9]
	s_mov_b32 s43, 0x3fd71e95
	v_add_f64 v[110:111], v[72:73], v[110:111]
	v_fma_f64 v[114:115], v[129:130], s[22:23], v[112:113]
	v_add_f64 v[4:5], v[145:146], v[4:5]
	v_fma_f64 v[145:146], v[139:140], s[24:25], -v[143:144]
	v_add_f64 v[108:109], v[72:73], v[108:109]
	v_fma_f64 v[112:113], v[129:130], s[22:23], -v[112:113]
	s_mov_b32 s42, s4
	v_fma_f64 v[116:117], v[127:128], s[28:29], -v[2:3]
	v_mul_f64 v[0:1], v[0:1], s[30:31]
	v_add_f64 v[106:107], v[74:75], v[106:107]
	v_fma_f64 v[2:3], v[127:128], s[28:29], v[2:3]
	v_add_f64 v[6:7], v[145:146], v[6:7]
	v_mul_f64 v[145:146], v[155:156], s[14:15]
	v_add_f64 v[112:113], v[74:75], v[112:113]
	v_add_f64 v[169:170], v[94:95], -v[62:63]
	v_add_f64 v[116:117], v[72:73], v[116:117]
	v_fma_f64 v[118:119], v[129:130], s[28:29], v[0:1]
	v_fma_f64 v[0:1], v[129:130], s[28:29], -v[0:1]
	v_add_f64 v[114:115], v[74:75], v[114:115]
	v_add_f64 v[2:3], v[72:73], v[2:3]
	v_fma_f64 v[149:150], v[137:138], s[16:17], v[145:146]
	v_add_f64 v[167:168], v[92:93], -v[60:61]
	s_mov_b32 s57, 0x3fc7851a
	s_mov_b32 s56, s30
	v_add_f64 v[118:119], v[74:75], v[118:119]
	v_add_f64 v[0:1], v[74:75], v[0:1]
	s_mov_b32 s47, 0x3fe58eea
	s_mov_b32 s46, s50
	v_add_f64 v[8:9], v[149:150], v[8:9]
	v_fma_f64 v[149:150], v[139:140], s[16:17], -v[147:148]
	v_mul_f64 v[163:164], v[167:168], s[34:35]
	v_mul_f64 v[171:172], v[167:168], s[56:57]
	v_add_f64 v[187:188], v[82:83], -v[58:59]
	v_add_f64 v[185:186], v[80:81], -v[56:57]
	s_mov_b32 s55, 0x3fe9895b
	s_mov_b32 s54, s34
	v_add_f64 v[201:202], v[48:49], v[76:77]
	v_add_f64 v[10:11], v[149:150], v[10:11]
	v_mul_f64 v[149:150], v[155:156], s[34:35]
	v_add_f64 v[203:204], v[76:77], -v[48:49]
	v_add_f64 v[197:198], v[78:79], -v[50:51]
	v_mul_f64 v[181:182], v[185:186], s[30:31]
	v_mul_f64 v[183:184], v[185:186], s[44:45]
	s_mov_b32 s53, 0x3fefdd0d
	s_mov_b32 s52, s14
	v_add_f64 v[217:218], v[44:45], v[24:25]
	v_fma_f64 v[157:158], v[137:138], s[36:37], v[149:150]
	v_mul_f64 v[195:196], v[203:204], s[38:39]
	v_mul_f64 v[199:200], v[203:204], s[46:47]
	v_add_f64 v[219:220], v[24:25], -v[44:45]
	v_add_f64 v[213:214], v[26:27], -v[46:47]
	v_add_f64 v[233:234], v[40:41], v[28:29]
	v_add_f64 v[235:236], v[28:29], -v[40:41]
	v_add_f64 v[229:230], v[30:31], -v[42:43]
	v_add_f64 v[12:13], v[157:158], v[12:13]
	v_fma_f64 v[157:158], v[139:140], s[36:37], -v[151:152]
	v_add_f64 v[227:228], v[42:43], v[30:31]
	v_mul_f64 v[215:216], v[219:220], s[4:5]
	v_add_f64 v[251:252], v[36:37], v[32:33]
	v_mul_f64 v[237:238], v[233:234], s[36:37]
	v_mul_f64 v[231:232], v[235:236], s[14:15]
	v_add_f64 v[249:250], v[32:33], -v[36:37]
	v_add_f64 v[239:240], v[34:35], -v[38:39]
	v_add_f64 v[14:15], v[157:158], v[14:15]
	v_mul_f64 v[157:158], v[155:156], s[30:31]
	v_mul_f64 v[241:242], v[251:252], s[2:3]
	s_waitcnt vmcnt(0)
	s_barrier
	v_mul_f64 v[243:244], v[249:250], s[42:43]
	v_fma_f64 v[159:160], v[137:138], s[28:29], -v[157:158]
	v_fma_f64 v[157:158], v[137:138], s[28:29], v[157:158]
	v_add_f64 v[18:19], v[159:160], v[18:19]
	v_mul_f64 v[159:160], v[153:154], s[30:31]
	v_add_f64 v[16:17], v[157:158], v[16:17]
	v_fma_f64 v[157:158], v[139:140], s[28:29], -v[159:160]
	v_fma_f64 v[161:162], v[139:140], s[28:29], v[159:160]
	v_add_f64 v[20:21], v[157:158], v[20:21]
	v_mul_f64 v[157:158], v[155:156], s[38:39]
	v_add_f64 v[22:23], v[161:162], v[22:23]
	;; [unrolled: 5-line block ×5, first 2 shown]
	v_fma_f64 v[157:158], v[139:140], s[18:19], -v[159:160]
	v_fma_f64 v[161:162], v[139:140], s[18:19], v[159:160]
	v_add_f64 v[104:105], v[157:158], v[104:105]
	v_mul_f64 v[157:158], v[155:156], s[40:41]
	v_mul_f64 v[155:156], v[155:156], s[42:43]
	v_add_f64 v[106:107], v[161:162], v[106:107]
	v_fma_f64 v[159:160], v[137:138], s[10:11], -v[157:158]
	v_fma_f64 v[157:158], v[137:138], s[10:11], v[157:158]
	v_add_f64 v[110:111], v[159:160], v[110:111]
	v_mul_f64 v[159:160], v[153:154], s[40:41]
	v_add_f64 v[108:109], v[157:158], v[108:109]
	v_mul_f64 v[153:154], v[153:154], s[42:43]
	v_fma_f64 v[157:158], v[139:140], s[10:11], -v[159:160]
	v_fma_f64 v[161:162], v[139:140], s[10:11], v[159:160]
	v_mul_f64 v[159:160], v[167:168], s[48:49]
	v_add_f64 v[112:113], v[157:158], v[112:113]
	v_fma_f64 v[157:158], v[137:138], s[2:3], -v[155:156]
	v_fma_f64 v[155:156], v[137:138], s[2:3], v[155:156]
	v_add_f64 v[114:115], v[161:162], v[114:115]
	v_add_f64 v[116:117], v[157:158], v[116:117]
	v_fma_f64 v[157:158], v[139:140], s[2:3], v[153:154]
	v_fma_f64 v[153:154], v[139:140], s[2:3], -v[153:154]
	v_add_f64 v[2:3], v[155:156], v[2:3]
	v_add_f64 v[155:156], v[94:95], v[62:63]
	;; [unrolled: 1-line block ×5, first 2 shown]
	v_mul_f64 v[157:158], v[169:170], s[48:49]
	v_fma_f64 v[161:162], v[153:154], s[10:11], v[157:158]
	v_add_f64 v[4:5], v[161:162], v[4:5]
	v_fma_f64 v[161:162], v[155:156], s[10:11], -v[159:160]
	v_add_f64 v[6:7], v[161:162], v[6:7]
	v_mul_f64 v[161:162], v[169:170], s[34:35]
	v_fma_f64 v[165:166], v[153:154], s[36:37], v[161:162]
	v_add_f64 v[8:9], v[165:166], v[8:9]
	v_fma_f64 v[165:166], v[155:156], s[36:37], -v[163:164]
	v_add_f64 v[10:11], v[165:166], v[10:11]
	;; [unrolled: 5-line block ×3, first 2 shown]
	v_mul_f64 v[173:174], v[169:170], s[44:45]
	v_fma_f64 v[175:176], v[153:154], s[18:19], -v[173:174]
	v_fma_f64 v[173:174], v[153:154], s[18:19], v[173:174]
	v_add_f64 v[18:19], v[175:176], v[18:19]
	v_mul_f64 v[175:176], v[167:168], s[44:45]
	v_add_f64 v[16:17], v[173:174], v[16:17]
	v_fma_f64 v[173:174], v[155:156], s[18:19], -v[175:176]
	v_fma_f64 v[177:178], v[155:156], s[18:19], v[175:176]
	v_add_f64 v[20:21], v[173:174], v[20:21]
	v_mul_f64 v[173:174], v[169:170], s[46:47]
	v_add_f64 v[22:23], v[177:178], v[22:23]
	;; [unrolled: 5-line block ×5, first 2 shown]
	v_fma_f64 v[173:174], v[155:156], s[2:3], -v[175:176]
	v_fma_f64 v[177:178], v[155:156], s[2:3], v[175:176]
	v_add_f64 v[104:105], v[173:174], v[104:105]
	v_mul_f64 v[173:174], v[169:170], s[14:15]
	v_mul_f64 v[169:170], v[169:170], s[20:21]
	v_add_f64 v[106:107], v[177:178], v[106:107]
	v_fma_f64 v[175:176], v[153:154], s[16:17], -v[173:174]
	v_fma_f64 v[173:174], v[153:154], s[16:17], v[173:174]
	v_add_f64 v[110:111], v[175:176], v[110:111]
	v_mul_f64 v[175:176], v[167:168], s[14:15]
	v_add_f64 v[108:109], v[173:174], v[108:109]
	v_mul_f64 v[167:168], v[167:168], s[20:21]
	v_fma_f64 v[173:174], v[155:156], s[16:17], -v[175:176]
	v_fma_f64 v[177:178], v[155:156], s[16:17], v[175:176]
	v_mul_f64 v[175:176], v[185:186], s[14:15]
	v_add_f64 v[112:113], v[173:174], v[112:113]
	v_fma_f64 v[173:174], v[153:154], s[22:23], -v[169:170]
	v_fma_f64 v[169:170], v[153:154], s[22:23], v[169:170]
	v_add_f64 v[114:115], v[177:178], v[114:115]
	v_add_f64 v[116:117], v[173:174], v[116:117]
	v_fma_f64 v[173:174], v[155:156], s[22:23], v[167:168]
	v_fma_f64 v[167:168], v[155:156], s[22:23], -v[167:168]
	v_add_f64 v[2:3], v[169:170], v[2:3]
	v_add_f64 v[169:170], v[82:83], v[58:59]
	;; [unrolled: 1-line block ×5, first 2 shown]
	v_mul_f64 v[173:174], v[187:188], s[14:15]
	v_fma_f64 v[177:178], v[167:168], s[16:17], v[173:174]
	v_add_f64 v[4:5], v[177:178], v[4:5]
	v_fma_f64 v[177:178], v[169:170], s[16:17], -v[175:176]
	v_add_f64 v[6:7], v[177:178], v[6:7]
	v_mul_f64 v[177:178], v[187:188], s[30:31]
	v_fma_f64 v[179:180], v[167:168], s[28:29], v[177:178]
	v_add_f64 v[8:9], v[179:180], v[8:9]
	v_fma_f64 v[179:180], v[169:170], s[28:29], -v[181:182]
	v_add_f64 v[10:11], v[179:180], v[10:11]
	;; [unrolled: 5-line block ×3, first 2 shown]
	v_mul_f64 v[189:190], v[187:188], s[42:43]
	v_fma_f64 v[191:192], v[167:168], s[2:3], -v[189:190]
	v_fma_f64 v[189:190], v[167:168], s[2:3], v[189:190]
	v_add_f64 v[18:19], v[191:192], v[18:19]
	v_mul_f64 v[191:192], v[185:186], s[42:43]
	v_add_f64 v[16:17], v[189:190], v[16:17]
	v_fma_f64 v[189:190], v[169:170], s[2:3], -v[191:192]
	v_fma_f64 v[193:194], v[169:170], s[2:3], v[191:192]
	v_add_f64 v[20:21], v[189:190], v[20:21]
	v_mul_f64 v[189:190], v[187:188], s[48:49]
	v_add_f64 v[22:23], v[193:194], v[22:23]
	;; [unrolled: 5-line block ×5, first 2 shown]
	v_fma_f64 v[189:190], v[169:170], s[22:23], -v[191:192]
	v_fma_f64 v[193:194], v[169:170], s[22:23], v[191:192]
	v_add_f64 v[104:105], v[189:190], v[104:105]
	v_mul_f64 v[189:190], v[187:188], s[54:55]
	v_mul_f64 v[187:188], v[187:188], s[46:47]
	v_add_f64 v[106:107], v[193:194], v[106:107]
	v_fma_f64 v[191:192], v[167:168], s[36:37], -v[189:190]
	v_fma_f64 v[189:190], v[167:168], s[36:37], v[189:190]
	v_add_f64 v[110:111], v[191:192], v[110:111]
	v_mul_f64 v[191:192], v[185:186], s[54:55]
	v_add_f64 v[108:109], v[189:190], v[108:109]
	v_mul_f64 v[185:186], v[185:186], s[46:47]
	v_fma_f64 v[189:190], v[169:170], s[36:37], -v[191:192]
	v_fma_f64 v[193:194], v[169:170], s[36:37], v[191:192]
	v_add_f64 v[191:192], v[50:51], v[78:79]
	v_add_f64 v[112:113], v[189:190], v[112:113]
	v_fma_f64 v[189:190], v[167:168], s[24:25], -v[187:188]
	v_fma_f64 v[187:188], v[167:168], s[24:25], v[187:188]
	v_add_f64 v[114:115], v[193:194], v[114:115]
	v_add_f64 v[116:117], v[189:190], v[116:117]
	v_fma_f64 v[189:190], v[169:170], s[24:25], v[185:186]
	v_fma_f64 v[185:186], v[169:170], s[24:25], -v[185:186]
	v_add_f64 v[2:3], v[187:188], v[2:3]
	v_mul_f64 v[187:188], v[203:204], s[26:27]
	v_add_f64 v[118:119], v[189:190], v[118:119]
	v_add_f64 v[0:1], v[185:186], v[0:1]
	v_mul_f64 v[185:186], v[201:202], s[18:19]
	v_fma_f64 v[189:190], v[197:198], s[26:27], v[185:186]
	v_add_f64 v[4:5], v[189:190], v[4:5]
	v_fma_f64 v[189:190], v[191:192], s[18:19], -v[187:188]
	v_add_f64 v[6:7], v[189:190], v[6:7]
	v_mul_f64 v[189:190], v[201:202], s[22:23]
	v_fma_f64 v[193:194], v[197:198], s[38:39], v[189:190]
	v_add_f64 v[8:9], v[193:194], v[8:9]
	v_fma_f64 v[193:194], v[191:192], s[22:23], -v[195:196]
	;; [unrolled: 5-line block ×3, first 2 shown]
	v_add_f64 v[14:15], v[205:206], v[14:15]
	v_mul_f64 v[205:206], v[201:202], s[10:11]
	v_fma_f64 v[207:208], v[197:198], s[40:41], v[205:206]
	v_fma_f64 v[205:206], v[197:198], s[48:49], v[205:206]
	v_add_f64 v[18:19], v[207:208], v[18:19]
	v_mul_f64 v[207:208], v[203:204], s[48:49]
	v_add_f64 v[16:17], v[205:206], v[16:17]
	v_fma_f64 v[205:206], v[191:192], s[10:11], -v[207:208]
	v_fma_f64 v[209:210], v[191:192], s[10:11], v[207:208]
	v_add_f64 v[20:21], v[205:206], v[20:21]
	v_mul_f64 v[205:206], v[201:202], s[28:29]
	v_add_f64 v[22:23], v[209:210], v[22:23]
	v_fma_f64 v[207:208], v[197:198], s[56:57], v[205:206]
	v_fma_f64 v[205:206], v[197:198], s[30:31], v[205:206]
	v_add_f64 v[54:55], v[207:208], v[54:55]
	v_mul_f64 v[207:208], v[203:204], s[30:31]
	v_add_f64 v[52:53], v[205:206], v[52:53]
	v_fma_f64 v[205:206], v[191:192], s[28:29], -v[207:208]
	v_fma_f64 v[209:210], v[191:192], s[28:29], v[207:208]
	v_add_f64 v[84:85], v[205:206], v[84:85]
	v_mul_f64 v[205:206], v[201:202], s[16:17]
	v_add_f64 v[86:87], v[209:210], v[86:87]
	v_fma_f64 v[207:208], v[197:198], s[14:15], v[205:206]
	v_fma_f64 v[205:206], v[197:198], s[52:53], v[205:206]
	v_add_f64 v[102:103], v[207:208], v[102:103]
	v_mul_f64 v[207:208], v[203:204], s[52:53]
	v_add_f64 v[100:101], v[205:206], v[100:101]
	v_fma_f64 v[205:206], v[191:192], s[16:17], -v[207:208]
	v_fma_f64 v[209:210], v[191:192], s[16:17], v[207:208]
	v_add_f64 v[104:105], v[205:206], v[104:105]
	v_mul_f64 v[205:206], v[201:202], s[2:3]
	v_mul_f64 v[201:202], v[201:202], s[36:37]
	v_add_f64 v[106:107], v[209:210], v[106:107]
	v_fma_f64 v[207:208], v[197:198], s[42:43], v[205:206]
	v_fma_f64 v[205:206], v[197:198], s[4:5], v[205:206]
	v_add_f64 v[110:111], v[207:208], v[110:111]
	v_mul_f64 v[207:208], v[203:204], s[4:5]
	v_add_f64 v[108:109], v[205:206], v[108:109]
	v_mul_f64 v[203:204], v[203:204], s[34:35]
	v_fma_f64 v[205:206], v[191:192], s[2:3], -v[207:208]
	v_fma_f64 v[209:210], v[191:192], s[2:3], v[207:208]
	v_add_f64 v[207:208], v[46:47], v[26:27]
	v_add_f64 v[112:113], v[205:206], v[112:113]
	v_fma_f64 v[205:206], v[197:198], s[54:55], v[201:202]
	v_fma_f64 v[201:202], v[197:198], s[34:35], v[201:202]
	v_add_f64 v[114:115], v[209:210], v[114:115]
	v_mul_f64 v[209:210], v[219:220], s[44:45]
	v_add_f64 v[116:117], v[205:206], v[116:117]
	v_add_f64 v[2:3], v[201:202], v[2:3]
	v_fma_f64 v[201:202], v[191:192], s[36:37], -v[203:204]
	v_fma_f64 v[205:206], v[191:192], s[36:37], v[203:204]
	v_mul_f64 v[203:204], v[219:220], s[34:35]
	v_add_f64 v[0:1], v[201:202], v[0:1]
	v_mul_f64 v[201:202], v[217:218], s[36:37]
	v_add_f64 v[118:119], v[205:206], v[118:119]
	v_fma_f64 v[205:206], v[213:214], s[34:35], v[201:202]
	v_add_f64 v[4:5], v[205:206], v[4:5]
	v_fma_f64 v[205:206], v[207:208], s[36:37], -v[203:204]
	v_add_f64 v[6:7], v[205:206], v[6:7]
	v_mul_f64 v[205:206], v[217:218], s[18:19]
	v_fma_f64 v[211:212], v[213:214], s[44:45], v[205:206]
	v_add_f64 v[8:9], v[211:212], v[8:9]
	v_fma_f64 v[211:212], v[207:208], s[18:19], -v[209:210]
	v_add_f64 v[10:11], v[211:212], v[10:11]
	v_mul_f64 v[211:212], v[217:218], s[2:3]
	;; [unrolled: 5-line block ×3, first 2 shown]
	v_fma_f64 v[223:224], v[213:214], s[38:39], v[221:222]
	v_fma_f64 v[221:222], v[213:214], s[20:21], v[221:222]
	v_add_f64 v[18:19], v[223:224], v[18:19]
	v_mul_f64 v[223:224], v[219:220], s[20:21]
	v_add_f64 v[16:17], v[221:222], v[16:17]
	v_fma_f64 v[221:222], v[207:208], s[22:23], -v[223:224]
	v_fma_f64 v[225:226], v[207:208], s[22:23], v[223:224]
	v_add_f64 v[20:21], v[221:222], v[20:21]
	v_mul_f64 v[221:222], v[217:218], s[16:17]
	v_add_f64 v[22:23], v[225:226], v[22:23]
	v_fma_f64 v[223:224], v[213:214], s[14:15], v[221:222]
	v_fma_f64 v[221:222], v[213:214], s[52:53], v[221:222]
	v_add_f64 v[54:55], v[223:224], v[54:55]
	v_mul_f64 v[223:224], v[219:220], s[52:53]
	v_add_f64 v[52:53], v[221:222], v[52:53]
	v_fma_f64 v[221:222], v[207:208], s[16:17], -v[223:224]
	v_fma_f64 v[225:226], v[207:208], s[16:17], v[223:224]
	v_add_f64 v[84:85], v[221:222], v[84:85]
	v_mul_f64 v[221:222], v[217:218], s[24:25]
	v_add_f64 v[86:87], v[225:226], v[86:87]
	v_fma_f64 v[223:224], v[213:214], s[46:47], v[221:222]
	v_fma_f64 v[221:222], v[213:214], s[50:51], v[221:222]
	v_add_f64 v[102:103], v[223:224], v[102:103]
	v_mul_f64 v[223:224], v[219:220], s[50:51]
	v_add_f64 v[100:101], v[221:222], v[100:101]
	v_fma_f64 v[221:222], v[207:208], s[24:25], -v[223:224]
	v_fma_f64 v[225:226], v[207:208], s[24:25], v[223:224]
	v_add_f64 v[104:105], v[221:222], v[104:105]
	v_mul_f64 v[221:222], v[217:218], s[28:29]
	v_mul_f64 v[217:218], v[217:218], s[10:11]
	v_add_f64 v[106:107], v[225:226], v[106:107]
	v_fma_f64 v[223:224], v[213:214], s[56:57], v[221:222]
	v_fma_f64 v[221:222], v[213:214], s[30:31], v[221:222]
	v_add_f64 v[110:111], v[223:224], v[110:111]
	v_mul_f64 v[223:224], v[219:220], s[30:31]
	v_add_f64 v[108:109], v[221:222], v[108:109]
	v_mul_f64 v[219:220], v[219:220], s[40:41]
	v_fma_f64 v[221:222], v[207:208], s[28:29], -v[223:224]
	v_fma_f64 v[225:226], v[207:208], s[28:29], v[223:224]
	v_mul_f64 v[223:224], v[235:236], s[40:41]
	v_add_f64 v[112:113], v[221:222], v[112:113]
	v_fma_f64 v[221:222], v[213:214], s[48:49], v[217:218]
	v_fma_f64 v[217:218], v[213:214], s[40:41], v[217:218]
	v_add_f64 v[114:115], v[225:226], v[114:115]
	v_add_f64 v[116:117], v[221:222], v[116:117]
	;; [unrolled: 1-line block ×3, first 2 shown]
	v_fma_f64 v[217:218], v[207:208], s[10:11], -v[219:220]
	v_fma_f64 v[221:222], v[207:208], s[10:11], v[219:220]
	v_mul_f64 v[219:220], v[235:236], s[20:21]
	v_add_f64 v[0:1], v[217:218], v[0:1]
	v_mul_f64 v[217:218], v[233:234], s[22:23]
	v_add_f64 v[118:119], v[221:222], v[118:119]
	v_fma_f64 v[221:222], v[229:230], s[20:21], v[217:218]
	v_add_f64 v[4:5], v[221:222], v[4:5]
	v_fma_f64 v[221:222], v[227:228], s[22:23], -v[219:220]
	v_add_f64 v[6:7], v[221:222], v[6:7]
	v_mul_f64 v[221:222], v[233:234], s[10:11]
	v_fma_f64 v[225:226], v[229:230], s[40:41], v[221:222]
	v_add_f64 v[245:246], v[225:226], v[8:9]
	v_fma_f64 v[8:9], v[227:228], s[10:11], -v[223:224]
	v_mul_f64 v[225:226], v[233:234], s[16:17]
	v_add_f64 v[247:248], v[8:9], v[10:11]
	v_fma_f64 v[8:9], v[229:230], s[14:15], v[225:226]
	v_fma_f64 v[10:11], v[227:228], s[16:17], -v[231:232]
	v_add_f64 v[8:9], v[8:9], v[12:13]
	v_fma_f64 v[12:13], v[229:230], s[34:35], v[237:238]
	v_add_f64 v[10:11], v[10:11], v[14:15]
	v_add_f64 v[12:13], v[12:13], v[18:19]
	v_mul_f64 v[18:19], v[235:236], s[54:55]
	v_fma_f64 v[14:15], v[227:228], s[36:37], v[18:19]
	v_fma_f64 v[18:19], v[227:228], s[36:37], -v[18:19]
	v_add_f64 v[14:15], v[14:15], v[22:23]
	v_fma_f64 v[22:23], v[229:230], s[54:55], v[237:238]
	v_mul_f64 v[237:238], v[233:234], s[2:3]
	v_add_f64 v[18:19], v[18:19], v[20:21]
	v_add_f64 v[16:17], v[22:23], v[16:17]
	v_fma_f64 v[20:21], v[229:230], s[42:43], v[237:238]
	v_add_f64 v[20:21], v[20:21], v[54:55]
	v_mul_f64 v[54:55], v[235:236], s[4:5]
	v_fma_f64 v[22:23], v[227:228], s[2:3], v[54:55]
	v_fma_f64 v[54:55], v[227:228], s[2:3], -v[54:55]
	v_add_f64 v[22:23], v[22:23], v[86:87]
	v_fma_f64 v[86:87], v[229:230], s[4:5], v[237:238]
	v_mul_f64 v[237:238], v[233:234], s[28:29]
	v_add_f64 v[54:55], v[54:55], v[84:85]
	v_add_f64 v[52:53], v[86:87], v[52:53]
	v_fma_f64 v[84:85], v[229:230], s[56:57], v[237:238]
	v_add_f64 v[84:85], v[84:85], v[102:103]
	v_mul_f64 v[102:103], v[235:236], s[30:31]
	v_fma_f64 v[86:87], v[227:228], s[28:29], v[102:103]
	v_fma_f64 v[102:103], v[227:228], s[28:29], -v[102:103]
	v_add_f64 v[86:87], v[86:87], v[106:107]
	v_fma_f64 v[106:107], v[229:230], s[30:31], v[237:238]
	v_mul_f64 v[237:238], v[233:234], s[24:25]
	v_add_f64 v[102:103], v[102:103], v[104:105]
	v_mul_f64 v[233:234], v[233:234], s[18:19]
	v_add_f64 v[100:101], v[106:107], v[100:101]
	v_fma_f64 v[104:105], v[229:230], s[50:51], v[237:238]
	v_add_f64 v[104:105], v[104:105], v[110:111]
	v_mul_f64 v[110:111], v[235:236], s[46:47]
	v_mul_f64 v[235:236], v[235:236], s[26:27]
	v_fma_f64 v[106:107], v[227:228], s[24:25], v[110:111]
	v_fma_f64 v[110:111], v[227:228], s[24:25], -v[110:111]
	v_add_f64 v[106:107], v[106:107], v[114:115]
	v_add_f64 v[110:111], v[110:111], v[112:113]
	v_fma_f64 v[112:113], v[229:230], s[44:45], v[233:234]
	v_fma_f64 v[114:115], v[229:230], s[46:47], v[237:238]
	v_add_f64 v[237:238], v[38:39], v[34:35]
	v_add_f64 v[112:113], v[112:113], v[116:117]
	v_fma_f64 v[116:117], v[229:230], s[26:27], v[233:234]
	v_add_f64 v[108:109], v[114:115], v[108:109]
	v_fma_f64 v[114:115], v[227:228], s[18:19], v[235:236]
	v_mul_f64 v[233:234], v[251:252], s[28:29]
	v_add_f64 v[116:117], v[116:117], v[2:3]
	v_fma_f64 v[2:3], v[227:228], s[18:19], -v[235:236]
	v_add_f64 v[114:115], v[114:115], v[118:119]
	v_mul_f64 v[235:236], v[249:250], s[30:31]
	v_add_f64 v[118:119], v[2:3], v[0:1]
	v_fma_f64 v[0:1], v[239:240], s[30:31], v[233:234]
	v_fma_f64 v[2:3], v[237:238], s[28:29], -v[235:236]
	v_add_f64 v[0:1], v[0:1], v[4:5]
	v_fma_f64 v[4:5], v[239:240], s[42:43], v[241:242]
	v_add_f64 v[2:3], v[2:3], v[6:7]
	v_fma_f64 v[6:7], v[237:238], s[2:3], -v[243:244]
	v_add_f64 v[4:5], v[4:5], v[245:246]
	v_mul_f64 v[245:246], v[251:252], s[22:23]
	v_add_f64 v[6:7], v[6:7], v[247:248]
	v_mul_f64 v[247:248], v[249:250], s[20:21]
	v_fma_f64 v[121:122], v[239:240], s[20:21], v[245:246]
	v_add_f64 v[8:9], v[121:122], v[8:9]
	v_fma_f64 v[121:122], v[237:238], s[22:23], -v[247:248]
	v_add_f64 v[10:11], v[121:122], v[10:11]
	v_mul_f64 v[121:122], v[251:252], s[24:25]
	v_fma_f64 v[123:124], v[239:240], s[50:51], v[121:122]
	v_fma_f64 v[121:122], v[239:240], s[46:47], v[121:122]
	v_add_f64 v[12:13], v[123:124], v[12:13]
	v_mul_f64 v[123:124], v[249:250], s[46:47]
	v_add_f64 v[16:17], v[121:122], v[16:17]
	v_fma_f64 v[121:122], v[237:238], s[24:25], -v[123:124]
	v_fma_f64 v[125:126], v[237:238], s[24:25], v[123:124]
	v_add_f64 v[18:19], v[121:122], v[18:19]
	v_mul_f64 v[121:122], v[251:252], s[36:37]
	v_add_f64 v[14:15], v[125:126], v[14:15]
	v_fma_f64 v[123:124], v[239:240], s[54:55], v[121:122]
	v_fma_f64 v[121:122], v[239:240], s[34:35], v[121:122]
	v_add_f64 v[20:21], v[123:124], v[20:21]
	v_mul_f64 v[123:124], v[249:250], s[34:35]
	v_add_f64 v[52:53], v[121:122], v[52:53]
	v_fma_f64 v[121:122], v[237:238], s[36:37], -v[123:124]
	v_fma_f64 v[125:126], v[237:238], s[36:37], v[123:124]
	v_add_f64 v[54:55], v[121:122], v[54:55]
	v_mul_f64 v[121:122], v[251:252], s[10:11]
	v_add_f64 v[22:23], v[125:126], v[22:23]
	;; [unrolled: 10-line block ×4, first 2 shown]
	v_fma_f64 v[123:124], v[239:240], s[14:15], v[121:122]
	v_fma_f64 v[121:122], v[239:240], s[52:53], v[121:122]
	v_add_f64 v[112:113], v[123:124], v[112:113]
	v_mul_f64 v[123:124], v[249:250], s[52:53]
	v_add_f64 v[116:117], v[121:122], v[116:117]
	v_mul_lo_u16_e32 v249, 17, v253
	v_fma_f64 v[125:126], v[237:238], s[16:17], v[123:124]
	v_fma_f64 v[121:122], v[237:238], s[16:17], -v[123:124]
	v_add_f64 v[114:115], v[125:126], v[114:115]
	v_add_f64 v[118:119], v[121:122], v[118:119]
	s_and_saveexec_b64 s[48:49], vcc
	s_cbranch_execz .LBB0_7
; %bb.6:
	v_add_f64 v[88:89], v[72:73], v[88:89]
	v_add_f64 v[90:91], v[74:75], v[90:91]
	v_mul_f64 v[121:122], v[127:128], s[10:11]
	v_mul_f64 v[125:126], v[137:138], s[24:25]
	;; [unrolled: 1-line block ×3, first 2 shown]
	v_add_f64 v[88:89], v[96:97], v[88:89]
	v_add_f64 v[90:91], v[98:99], v[90:91]
	v_add_f64 v[121:122], v[121:122], -v[133:134]
	v_mul_f64 v[96:97], v[129:130], s[2:3]
	v_mul_f64 v[98:99], v[127:128], s[24:25]
	;; [unrolled: 1-line block ×3, first 2 shown]
	v_add_f64 v[123:124], v[123:124], v[215:216]
	v_add_f64 v[88:89], v[92:93], v[88:89]
	v_mul_f64 v[92:93], v[129:130], s[10:11]
	v_add_f64 v[90:91], v[94:95], v[90:91]
	v_mul_f64 v[94:95], v[139:140], s[36:37]
	v_add_f64 v[121:122], v[72:73], v[121:122]
	v_add_f64 v[80:81], v[80:81], v[88:89]
	;; [unrolled: 1-line block ×4, first 2 shown]
	v_mul_f64 v[90:91], v[155:156], s[28:29]
	v_add_f64 v[94:95], v[151:152], v[94:95]
	v_mul_f64 v[135:136], v[137:138], s[36:37]
	v_mul_f64 v[88:89], v[127:128], s[2:3]
	;; [unrolled: 1-line block ×3, first 2 shown]
	v_add_f64 v[76:77], v[76:77], v[80:81]
	v_add_f64 v[92:93], v[74:75], v[92:93]
	v_mul_f64 v[80:81], v[169:170], s[18:19]
	v_add_f64 v[90:91], v[171:172], v[90:91]
	v_mul_f64 v[151:152], v[155:156], s[36:37]
	v_add_f64 v[135:136], v[135:136], -v[149:150]
	v_add_f64 v[78:79], v[78:79], v[82:83]
	v_mul_f64 v[82:83], v[191:192], s[24:25]
	v_add_f64 v[24:25], v[24:25], v[76:77]
	v_add_f64 v[92:93], v[94:95], v[92:93]
	;; [unrolled: 1-line block ×3, first 2 shown]
	v_mul_f64 v[94:95], v[129:130], s[24:25]
	v_mul_f64 v[129:130], v[139:140], s[16:17]
	v_add_f64 v[121:122], v[135:136], v[121:122]
	v_mul_f64 v[139:140], v[153:154], s[36:37]
	v_mul_f64 v[183:184], v[213:214], s[4:5]
	v_add_f64 v[26:27], v[26:27], v[78:79]
	v_add_f64 v[90:91], v[90:91], v[92:93]
	v_mul_f64 v[92:93], v[137:138], s[16:17]
	v_mul_f64 v[137:138], v[153:154], s[28:29]
	;; [unrolled: 1-line block ×3, first 2 shown]
	v_add_f64 v[24:25], v[28:29], v[24:25]
	v_add_f64 v[94:95], v[131:132], v[94:95]
	v_add_f64 v[78:79], v[211:212], -v[183:184]
	v_add_f64 v[26:27], v[30:31], v[26:27]
	v_add_f64 v[80:81], v[80:81], v[90:91]
	v_mul_f64 v[90:91], v[155:156], s[10:11]
	v_add_f64 v[137:138], v[137:138], -v[165:166]
	v_mul_f64 v[165:166], v[167:168], s[18:19]
	v_mul_f64 v[155:156], v[169:170], s[28:29]
	;; [unrolled: 1-line block ×3, first 2 shown]
	v_add_f64 v[24:25], v[32:33], v[24:25]
	v_add_f64 v[26:27], v[34:35], v[26:27]
	;; [unrolled: 1-line block ×5, first 2 shown]
	v_add_f64 v[165:166], v[165:166], -v[179:180]
	v_add_f64 v[129:130], v[147:148], v[129:130]
	v_add_f64 v[169:170], v[193:194], -v[169:170]
	v_add_f64 v[24:25], v[36:37], v[24:25]
	v_add_f64 v[26:27], v[38:39], v[26:27]
	;; [unrolled: 1-line block ×3, first 2 shown]
	v_mul_f64 v[131:132], v[167:168], s[16:17]
	v_add_f64 v[80:81], v[82:83], v[80:81]
	v_add_f64 v[121:122], v[165:166], v[121:122]
	v_mul_f64 v[82:83], v[167:168], s[28:29]
	v_add_f64 v[151:152], v[163:164], v[151:152]
	v_add_f64 v[24:25], v[40:41], v[24:25]
	;; [unrolled: 1-line block ×4, first 2 shown]
	v_add_f64 v[36:37], v[139:140], -v[161:162]
	v_mul_f64 v[149:150], v[191:192], s[18:19]
	v_add_f64 v[121:122], v[169:170], v[121:122]
	v_add_f64 v[42:43], v[175:176], v[153:154]
	v_mul_f64 v[147:148], v[197:198], s[26:27]
	v_add_f64 v[24:25], v[44:45], v[24:25]
	v_add_f64 v[26:27], v[46:47], v[26:27]
	v_mul_f64 v[163:164], v[197:198], s[38:39]
	v_mul_f64 v[167:168], v[191:192], s[22:23]
	v_add_f64 v[155:156], v[181:182], v[155:156]
	v_add_f64 v[30:31], v[78:79], v[121:122]
	buffer_load_dword v121, off, s[60:63], 0 offset:16 ; 4-byte Folded Reload
	buffer_load_dword v122, off, s[60:63], 0 offset:20 ; 4-byte Folded Reload
	;; [unrolled: 1-line block ×6, first 2 shown]
	v_add_f64 v[94:95], v[151:152], v[94:95]
	v_add_f64 v[40:41], v[82:83], -v[177:178]
	v_mul_f64 v[135:136], v[207:208], s[36:37]
	v_add_f64 v[44:45], v[149:150], v[187:188]
	v_add_f64 v[26:27], v[50:51], v[26:27]
	;; [unrolled: 1-line block ×3, first 2 shown]
	v_mul_f64 v[129:130], v[213:214], s[34:35]
	v_mul_f64 v[171:172], v[213:214], s[44:45]
	;; [unrolled: 1-line block ×3, first 2 shown]
	v_add_f64 v[167:168], v[167:168], v[195:196]
	v_add_f64 v[94:95], v[155:156], v[94:95]
	v_mul_f64 v[137:138], v[227:228], s[22:23]
	v_add_f64 v[46:47], v[135:136], v[203:204]
	v_add_f64 v[26:27], v[58:59], v[26:27]
	;; [unrolled: 1-line block ×3, first 2 shown]
	v_mul_f64 v[151:152], v[229:230], s[20:21]
	v_mul_f64 v[191:192], v[229:230], s[40:41]
	;; [unrolled: 1-line block ×4, first 2 shown]
	v_add_f64 v[80:81], v[123:124], v[80:81]
	v_add_f64 v[123:124], v[181:182], v[209:210]
	;; [unrolled: 1-line block ×3, first 2 shown]
	v_mul_f64 v[179:180], v[227:228], s[16:17]
	v_mul_f64 v[197:198], v[229:230], s[14:15]
	;; [unrolled: 1-line block ×3, first 2 shown]
	v_add_f64 v[26:27], v[62:63], v[26:27]
	v_add_f64 v[24:25], v[60:61], v[24:25]
	v_mul_f64 v[155:156], v[239:240], s[30:31]
	v_mul_f64 v[193:194], v[239:240], s[42:43]
	;; [unrolled: 1-line block ×3, first 2 shown]
	v_add_f64 v[76:77], v[165:166], v[247:248]
	v_add_f64 v[165:166], v[195:196], v[223:224]
	;; [unrolled: 1-line block ×4, first 2 shown]
	v_mul_f64 v[213:214], v[239:240], s[20:21]
	v_add_f64 v[28:29], v[225:226], -v[197:198]
	v_add_f64 v[48:49], v[66:67], v[26:27]
	v_add_f64 v[24:25], v[64:65], v[24:25]
	;; [unrolled: 1-line block ×5, first 2 shown]
	v_add_f64 v[123:124], v[245:246], -v[213:214]
	v_add_f64 v[50:51], v[28:29], v[30:31]
	v_add_f64 v[30:31], v[78:79], v[94:95]
	;; [unrolled: 1-line block ×3, first 2 shown]
	s_waitcnt vmcnt(4)
	v_add_f64 v[96:97], v[121:122], v[96:97]
	s_waitcnt vmcnt(2)
	v_add_f64 v[32:33], v[88:89], -v[32:33]
	s_waitcnt vmcnt(0)
	v_add_f64 v[34:35], v[98:99], -v[34:35]
	v_add_f64 v[88:89], v[92:93], -v[145:146]
	v_add_f64 v[92:93], v[143:144], v[127:128]
	v_add_f64 v[74:75], v[74:75], v[96:97]
	v_add_f64 v[96:97], v[125:126], -v[141:142]
	v_add_f64 v[32:33], v[72:73], v[32:33]
	v_add_f64 v[34:35], v[72:73], v[34:35]
	v_add_f64 v[72:73], v[92:93], v[74:75]
	v_add_f64 v[74:75], v[133:134], -v[157:158]
	v_add_f64 v[32:33], v[96:97], v[32:33]
	;; [unrolled: 4-line block ×3, first 2 shown]
	v_add_f64 v[34:35], v[36:37], v[34:35]
	v_add_f64 v[36:37], v[189:190], -v[163:164]
	v_add_f64 v[38:39], v[42:43], v[38:39]
	v_add_f64 v[42:43], v[185:186], -v[147:148]
	v_add_f64 v[32:33], v[72:73], v[32:33]
	v_add_f64 v[34:35], v[40:41], v[34:35]
	v_add_f64 v[40:41], v[205:206], -v[171:172]
	v_add_f64 v[38:39], v[44:45], v[38:39]
	v_add_f64 v[44:45], v[201:202], -v[129:130]
	v_add_f64 v[32:33], v[42:43], v[32:33]
	v_add_f64 v[34:35], v[36:37], v[34:35]
	v_add_f64 v[42:43], v[137:138], v[219:220]
	v_add_f64 v[36:37], v[221:222], -v[191:192]
	v_add_f64 v[38:39], v[46:47], v[38:39]
	v_add_f64 v[46:47], v[217:218], -v[151:152]
	v_add_f64 v[32:33], v[44:45], v[32:33]
	;; [unrolled: 6-line block ×3, first 2 shown]
	v_add_f64 v[46:47], v[36:37], v[34:35]
	v_add_f64 v[36:37], v[68:69], v[24:25]
	;; [unrolled: 1-line block ×7, first 2 shown]
	v_add_lshl_u32 v40, v255, v249, 4
	ds_write_b128 v40, v[36:39]
	ds_write_b128 v40, v[32:35] offset:16
	ds_write_b128 v40, v[28:31] offset:32
	;; [unrolled: 1-line block ×16, first 2 shown]
.LBB0_7:
	s_or_b64 exec, exec, s[48:49]
	v_mad_u64_u32 v[36:37], s[4:5], v253, 48, s[8:9]
	s_load_dwordx4 s[0:3], s[0:1], 0x0
	s_waitcnt lgkmcnt(0)
	s_barrier
	global_load_dwordx4 v[32:35], v[36:37], off
	global_load_dwordx4 v[28:31], v[36:37], off offset:16
	global_load_dwordx4 v[24:27], v[36:37], off offset:32
	v_add_lshl_u32 v182, v255, v253, 4
	ds_read_b128 v[36:39], v182 offset:272
	ds_read_b128 v[40:43], v182 offset:544
	;; [unrolled: 1-line block ×3, first 2 shown]
	ds_read_b128 v[48:51], v182
	s_waitcnt vmcnt(2) lgkmcnt(3)
	v_mul_f64 v[58:59], v[36:37], v[34:35]
	s_waitcnt vmcnt(1) lgkmcnt(2)
	v_mul_f64 v[60:61], v[42:43], v[30:31]
	;; [unrolled: 2-line block ×3, first 2 shown]
	v_mul_f64 v[56:57], v[38:39], v[34:35]
	v_mul_f64 v[62:63], v[40:41], v[30:31]
	;; [unrolled: 1-line block ×3, first 2 shown]
	v_fma_f64 v[38:39], v[38:39], v[32:33], v[58:59]
	v_fma_f64 v[40:41], v[40:41], v[28:29], -v[60:61]
	v_fma_f64 v[46:47], v[46:47], v[24:25], v[66:67]
	v_fma_f64 v[36:37], v[36:37], v[32:33], -v[56:57]
	v_fma_f64 v[42:43], v[42:43], v[28:29], v[62:63]
	v_fma_f64 v[44:45], v[44:45], v[24:25], -v[64:65]
	s_waitcnt lgkmcnt(0)
	v_add_f64 v[56:57], v[48:49], -v[40:41]
	v_add_f64 v[40:41], v[38:39], -v[46:47]
	;; [unrolled: 1-line block ×4, first 2 shown]
	v_fma_f64 v[60:61], v[48:49], 2.0, -v[56:57]
	v_fma_f64 v[38:39], v[38:39], 2.0, -v[40:41]
	v_add_f64 v[40:41], v[56:57], -v[40:41]
	v_fma_f64 v[62:63], v[50:51], 2.0, -v[58:59]
	v_fma_f64 v[36:37], v[36:37], 2.0, -v[42:43]
	v_add_f64 v[42:43], v[58:59], v[42:43]
	v_fma_f64 v[48:49], v[56:57], 2.0, -v[40:41]
	buffer_load_dword v56, off, s[60:63], 0 offset:4 ; 4-byte Folded Reload
	v_add_f64 v[44:45], v[60:61], -v[36:37]
	v_add_f64 v[46:47], v[62:63], -v[38:39]
	v_fma_f64 v[50:51], v[58:59], 2.0, -v[42:43]
	v_fma_f64 v[36:37], v[60:61], 2.0, -v[44:45]
	;; [unrolled: 1-line block ×3, first 2 shown]
	s_waitcnt vmcnt(0)
	v_lshl_add_u32 v181, v253, 4, v56
	ds_write_b128 v181, v[40:43] offset:816
	ds_write_b128 v181, v[48:51] offset:272
	;; [unrolled: 1-line block ×3, first 2 shown]
	ds_write_b128 v181, v[36:39]
	s_waitcnt lgkmcnt(0)
	s_barrier
	s_and_saveexec_b64 s[4:5], vcc
	s_cbranch_execz .LBB0_9
; %bb.8:
	buffer_load_dword v68, off, s[60:63], 0 ; 4-byte Folded Reload
	global_load_dwordx4 v[60:63], v254, s[6:7] offset:1088
	s_add_u32 s8, s6, 0x440
	s_addc_u32 s9, s7, 0
	s_waitcnt vmcnt(1)
	ds_read_b128 v[56:59], v68
	s_waitcnt vmcnt(0) lgkmcnt(0)
	v_mul_f64 v[64:65], v[58:59], v[62:63]
	v_fma_f64 v[64:65], v[56:57], v[60:61], -v[64:65]
	v_mul_f64 v[56:57], v[56:57], v[62:63]
	v_fma_f64 v[66:67], v[58:59], v[60:61], v[56:57]
	global_load_dwordx4 v[60:63], v254, s[8:9] offset:64
	ds_write_b128 v68, v[64:67]
	ds_read_b128 v[56:59], v181 offset:64
	s_waitcnt vmcnt(0) lgkmcnt(0)
	v_mul_f64 v[64:65], v[58:59], v[62:63]
	v_fma_f64 v[64:65], v[56:57], v[60:61], -v[64:65]
	v_mul_f64 v[56:57], v[56:57], v[62:63]
	v_fma_f64 v[66:67], v[58:59], v[60:61], v[56:57]
	global_load_dwordx4 v[60:63], v254, s[8:9] offset:128
	ds_read_b128 v[56:59], v181 offset:128
	ds_write_b128 v181, v[64:67] offset:64
	s_waitcnt vmcnt(0) lgkmcnt(1)
	v_mul_f64 v[64:65], v[58:59], v[62:63]
	v_fma_f64 v[64:65], v[56:57], v[60:61], -v[64:65]
	v_mul_f64 v[56:57], v[56:57], v[62:63]
	v_fma_f64 v[66:67], v[58:59], v[60:61], v[56:57]
	global_load_dwordx4 v[60:63], v254, s[8:9] offset:192
	ds_read_b128 v[56:59], v181 offset:192
	ds_write_b128 v181, v[64:67] offset:128
	;; [unrolled: 8-line block ×15, first 2 shown]
	s_waitcnt vmcnt(0) lgkmcnt(1)
	v_mul_f64 v[64:65], v[58:59], v[62:63]
	v_fma_f64 v[64:65], v[56:57], v[60:61], -v[64:65]
	v_mul_f64 v[56:57], v[56:57], v[62:63]
	v_fma_f64 v[66:67], v[58:59], v[60:61], v[56:57]
	ds_write_b128 v181, v[64:67] offset:1024
.LBB0_9:
	s_or_b64 exec, exec, s[4:5]
	s_waitcnt lgkmcnt(0)
	s_barrier
	s_and_saveexec_b64 s[4:5], vcc
	s_cbranch_execz .LBB0_11
; %bb.10:
	buffer_load_dword v0, off, s[60:63], 0  ; 4-byte Folded Reload
	s_waitcnt vmcnt(0)
	ds_read_b128 v[36:39], v0
	ds_read_b128 v[48:51], v181 offset:64
	ds_read_b128 v[44:47], v181 offset:128
	;; [unrolled: 1-line block ×16, first 2 shown]
.LBB0_11:
	s_or_b64 exec, exec, s[4:5]
	s_waitcnt lgkmcnt(0)
	s_barrier
	s_and_saveexec_b64 s[4:5], vcc
	s_cbranch_execz .LBB0_13
; %bb.12:
	v_add_f64 v[179:180], v[48:49], -v[0:1]
	s_mov_b32 s14, 0xacd6c6b4
	s_mov_b32 s15, 0xbfc7851a
	v_add_f64 v[177:178], v[44:45], -v[4:5]
	v_add_f64 v[135:136], v[2:3], v[50:51]
	s_mov_b32 s28, 0x5d8e7cdc
	s_mov_b32 s16, 0x7faef3
	;; [unrolled: 1-line block ×3, first 2 shown]
	v_mul_f64 v[56:57], v[179:180], s[14:15]
	s_mov_b32 s17, 0xbfef7484
	v_add_f64 v[143:144], v[40:41], -v[8:9]
	v_mul_f64 v[58:59], v[177:178], s[28:29]
	v_add_f64 v[131:132], v[6:7], v[46:47]
	s_mov_b32 s18, 0x4363dd80
	s_mov_b32 s24, 0x370991
	s_mov_b32 s19, 0xbfe0d888
	v_fma_f64 v[66:67], v[135:136], s[16:17], v[56:57]
	s_mov_b32 s25, 0x3fedd6d0
	v_add_f64 v[139:140], v[12:13], -v[16:17]
	v_mul_f64 v[68:69], v[143:144], s[18:19]
	v_add_f64 v[133:134], v[42:43], v[10:11]
	v_fma_f64 v[70:71], v[131:132], s[24:25], v[58:59]
	s_mov_b32 s52, 0x2a9d6da3
	s_mov_b32 s20, 0x910ea3b9
	v_add_f64 v[66:67], v[38:39], v[66:67]
	s_mov_b32 s53, 0x3fe58eea
	s_mov_b32 s21, 0xbfeb34fa
	v_add_f64 v[137:138], v[20:21], -v[52:53]
	v_mul_f64 v[72:73], v[139:140], s[52:53]
	v_add_f64 v[129:130], v[14:15], v[18:19]
	v_fma_f64 v[74:75], v[133:134], s[20:21], v[68:69]
	v_add_f64 v[163:164], v[50:51], -v[2:3]
	v_add_f64 v[66:67], v[70:71], v[66:67]
	s_mov_b32 s22, 0x6c9a05f6
	s_mov_b32 s34, 0x75d4884
	;; [unrolled: 1-line block ×4, first 2 shown]
	v_add_f64 v[125:126], v[84:85], -v[100:101]
	v_mul_f64 v[70:71], v[137:138], s[22:23]
	v_add_f64 v[127:128], v[54:55], v[22:23]
	v_fma_f64 v[76:77], v[129:130], s[34:35], v[72:73]
	v_add_f64 v[66:67], v[74:75], v[66:67]
	v_add_f64 v[161:162], v[46:47], -v[6:7]
	v_add_f64 v[159:160], v[0:1], v[48:49]
	v_mul_f64 v[74:75], v[163:164], s[14:15]
	s_mov_b32 s26, 0x7c9e640b
	s_mov_b32 s30, 0x6ed5f1bb
	;; [unrolled: 1-line block ×4, first 2 shown]
	v_add_f64 v[123:124], v[104:105], -v[108:109]
	v_mul_f64 v[64:65], v[125:126], s[26:27]
	v_add_f64 v[141:142], v[102:103], v[86:87]
	v_fma_f64 v[78:79], v[127:128], s[30:31], v[70:71]
	v_add_f64 v[66:67], v[76:77], v[66:67]
	v_add_f64 v[165:166], v[42:43], -v[10:11]
	v_add_f64 v[157:158], v[4:5], v[44:45]
	v_mul_f64 v[76:77], v[161:162], s[28:29]
	v_fma_f64 v[80:81], v[159:160], s[16:17], -v[74:75]
	s_mov_b32 s10, 0x923c349f
	s_mov_b32 s38, 0x2b2883cd
	;; [unrolled: 1-line block ×4, first 2 shown]
	v_mul_f64 v[62:63], v[123:124], s[10:11]
	v_add_f64 v[98:99], v[110:111], v[106:107]
	v_fma_f64 v[82:83], v[141:142], s[38:39], v[64:65]
	v_add_f64 v[66:67], v[78:79], v[66:67]
	v_add_f64 v[167:168], v[14:15], -v[18:19]
	v_add_f64 v[153:154], v[40:41], v[8:9]
	v_mul_f64 v[78:79], v[165:166], s[18:19]
	v_fma_f64 v[88:89], v[157:158], s[24:25], -v[76:77]
	v_add_f64 v[80:81], v[36:37], v[80:81]
	s_mov_b32 s36, 0xc61f0d01
	s_mov_b32 s37, 0xbfd183b1
	v_fma_f64 v[90:91], v[98:99], s[36:37], v[62:63]
	v_add_f64 v[66:67], v[82:83], v[66:67]
	v_add_f64 v[169:170], v[52:53], v[20:21]
	;; [unrolled: 1-line block ×3, first 2 shown]
	v_mul_f64 v[82:83], v[167:168], s[52:53]
	v_fma_f64 v[92:93], v[153:154], s[20:21], -v[78:79]
	v_add_f64 v[80:81], v[88:89], v[80:81]
	v_add_f64 v[171:172], v[100:101], v[84:85]
	v_add_f64 v[155:156], v[22:23], -v[54:55]
	v_add_f64 v[66:67], v[90:91], v[66:67]
	v_mul_f64 v[90:91], v[169:170], s[30:31]
	s_mov_b32 s41, 0x3fe9895b
	v_fma_f64 v[94:95], v[151:152], s[34:35], -v[82:83]
	s_mov_b32 s40, s22
	v_add_f64 v[80:81], v[92:93], v[80:81]
	v_add_f64 v[121:122], v[112:113], -v[116:117]
	v_add_f64 v[175:176], v[108:109], v[104:105]
	v_mul_f64 v[183:184], v[171:172], s[38:39]
	v_add_f64 v[149:150], v[86:87], -v[102:103]
	v_fma_f64 v[185:186], v[155:156], s[40:41], v[90:91]
	v_fma_f64 v[56:57], v[135:136], s[16:17], -v[56:57]
	s_mov_b32 s50, 0xeb564b22
	v_add_f64 v[80:81], v[94:95], v[80:81]
	s_mov_b32 s51, 0x3fefdd0d
	s_mov_b32 s45, 0xbfeca52d
	;; [unrolled: 1-line block ×3, first 2 shown]
	v_add_f64 v[96:97], v[118:119], v[114:115]
	v_mul_f64 v[60:61], v[121:122], s[50:51]
	v_add_f64 v[173:174], v[116:117], v[112:113]
	v_mul_f64 v[94:95], v[175:176], s[36:37]
	v_add_f64 v[147:148], v[106:107], -v[110:111]
	v_fma_f64 v[187:188], v[149:150], s[44:45], v[183:184]
	v_add_f64 v[80:81], v[185:186], v[80:81]
	v_fma_f64 v[58:59], v[131:132], s[24:25], -v[58:59]
	v_fma_f64 v[74:75], v[159:160], s[16:17], v[74:75]
	v_add_f64 v[56:57], v[38:39], v[56:57]
	s_mov_b32 s8, 0x3259b75e
	s_mov_b32 s9, 0x3fb79ee6
	;; [unrolled: 1-line block ×4, first 2 shown]
	v_fma_f64 v[88:89], v[96:97], s[8:9], v[60:61]
	v_mul_f64 v[92:93], v[173:174], s[8:9]
	v_add_f64 v[145:146], v[114:115], -v[118:119]
	v_fma_f64 v[185:186], v[147:148], s[42:43], v[94:95]
	v_add_f64 v[80:81], v[187:188], v[80:81]
	v_fma_f64 v[68:69], v[133:134], s[20:21], -v[68:69]
	v_fma_f64 v[76:77], v[157:158], s[24:25], v[76:77]
	v_mul_f64 v[189:190], v[179:180], s[18:19]
	v_add_f64 v[74:75], v[36:37], v[74:75]
	v_add_f64 v[56:57], v[58:59], v[56:57]
	s_mov_b32 s47, 0xbfefdd0d
	s_mov_b32 s46, s50
	v_fma_f64 v[187:188], v[145:146], s[46:47], v[92:93]
	v_add_f64 v[80:81], v[185:186], v[80:81]
	v_add_f64 v[58:59], v[88:89], v[66:67]
	v_fma_f64 v[66:67], v[129:130], s[34:35], -v[72:73]
	v_fma_f64 v[72:73], v[153:154], s[20:21], v[78:79]
	v_mul_f64 v[78:79], v[177:178], s[26:27]
	v_fma_f64 v[88:89], v[135:136], s[20:21], v[189:190]
	v_add_f64 v[74:75], v[76:77], v[74:75]
	v_add_f64 v[68:69], v[68:69], v[56:57]
	;; [unrolled: 1-line block ×3, first 2 shown]
	v_fma_f64 v[70:71], v[127:128], s[30:31], -v[70:71]
	v_fma_f64 v[76:77], v[151:152], s[34:35], v[82:83]
	v_mul_f64 v[80:81], v[143:144], s[46:47]
	v_fma_f64 v[82:83], v[131:132], s[38:39], v[78:79]
	v_add_f64 v[88:89], v[38:39], v[88:89]
	v_add_f64 v[72:73], v[72:73], v[74:75]
	;; [unrolled: 1-line block ×3, first 2 shown]
	v_fma_f64 v[64:65], v[141:142], s[38:39], -v[64:65]
	v_fma_f64 v[68:69], v[155:156], s[22:23], v[90:91]
	v_mul_f64 v[74:75], v[139:140], s[40:41]
	v_fma_f64 v[90:91], v[133:134], s[8:9], v[80:81]
	s_mov_b32 s49, 0xbfd71e95
	v_add_f64 v[82:83], v[82:83], v[88:89]
	v_add_f64 v[72:73], v[76:77], v[72:73]
	;; [unrolled: 1-line block ×3, first 2 shown]
	s_mov_b32 s48, s28
	v_fma_f64 v[62:63], v[98:99], s[36:37], -v[62:63]
	v_fma_f64 v[70:71], v[149:150], s[26:27], v[183:184]
	v_mul_f64 v[76:77], v[137:138], s[48:49]
	v_fma_f64 v[88:89], v[129:130], s[30:31], v[74:75]
	v_add_f64 v[82:83], v[90:91], v[82:83]
	v_add_f64 v[68:69], v[68:69], v[72:73]
	;; [unrolled: 1-line block ×3, first 2 shown]
	v_mul_f64 v[66:67], v[163:164], s[18:19]
	v_fma_f64 v[72:73], v[147:148], s[10:11], v[94:95]
	v_mul_f64 v[90:91], v[125:126], s[14:15]
	v_fma_f64 v[94:95], v[127:128], s[24:25], v[76:77]
	v_fma_f64 v[189:190], v[135:136], s[20:21], -v[189:190]
	v_add_f64 v[82:83], v[88:89], v[82:83]
	v_add_f64 v[68:69], v[70:71], v[68:69]
	;; [unrolled: 1-line block ×3, first 2 shown]
	v_mul_f64 v[64:65], v[161:162], s[26:27]
	v_fma_f64 v[70:71], v[159:160], s[20:21], -v[66:67]
	v_fma_f64 v[183:184], v[141:142], s[16:17], v[90:91]
	v_fma_f64 v[66:67], v[159:160], s[20:21], v[66:67]
	v_fma_f64 v[78:79], v[131:132], s[38:39], -v[78:79]
	v_add_f64 v[82:83], v[94:95], v[82:83]
	v_add_f64 v[68:69], v[72:73], v[68:69]
	v_mul_f64 v[72:73], v[165:166], s[46:47]
	v_fma_f64 v[94:95], v[157:158], s[38:39], -v[64:65]
	v_add_f64 v[70:71], v[36:37], v[70:71]
	v_add_f64 v[189:190], v[38:39], v[189:190]
	v_fma_f64 v[64:65], v[157:158], s[38:39], v[64:65]
	v_add_f64 v[66:67], v[36:37], v[66:67]
	v_add_f64 v[82:83], v[183:184], v[82:83]
	v_mul_f64 v[183:184], v[167:168], s[40:41]
	v_fma_f64 v[191:192], v[153:154], s[8:9], -v[72:73]
	v_mul_f64 v[193:194], v[169:170], s[24:25]
	v_add_f64 v[70:71], v[94:95], v[70:71]
	v_fma_f64 v[80:81], v[133:134], s[8:9], -v[80:81]
	v_add_f64 v[78:79], v[78:79], v[189:190]
	v_fma_f64 v[72:73], v[153:154], s[8:9], v[72:73]
	v_add_f64 v[64:65], v[64:65], v[66:67]
	v_fma_f64 v[195:196], v[151:152], s[30:31], -v[183:184]
	v_mul_f64 v[66:67], v[171:172], s[16:17]
	v_fma_f64 v[189:190], v[155:156], s[28:29], v[193:194]
	v_add_f64 v[70:71], v[191:192], v[70:71]
	v_fma_f64 v[74:75], v[129:130], s[30:31], -v[74:75]
	v_add_f64 v[78:79], v[80:81], v[78:79]
	s_mov_b32 s55, 0x3fc7851a
	s_mov_b32 s54, s14
	v_fma_f64 v[88:89], v[145:146], s[50:51], v[92:93]
	v_mul_f64 v[92:93], v[123:124], s[52:53]
	v_mul_f64 v[191:192], v[175:176], s[34:35]
	v_add_f64 v[70:71], v[195:196], v[70:71]
	v_fma_f64 v[80:81], v[151:152], s[30:31], v[183:184]
	v_add_f64 v[64:65], v[72:73], v[64:65]
	v_fma_f64 v[72:73], v[149:150], s[54:55], v[66:67]
	v_fma_f64 v[76:77], v[127:128], s[24:25], -v[76:77]
	v_add_f64 v[74:75], v[74:75], v[78:79]
	s_mov_b32 s57, 0xbfe58eea
	s_mov_b32 s56, s52
	v_add_f64 v[70:71], v[189:190], v[70:71]
	v_mul_f64 v[185:186], v[121:122], s[10:11]
	v_fma_f64 v[187:188], v[98:99], s[34:35], v[92:93]
	v_fma_f64 v[78:79], v[155:156], s[48:49], v[193:194]
	v_add_f64 v[64:65], v[80:81], v[64:65]
	v_fma_f64 v[80:81], v[147:148], s[56:57], v[191:192]
	v_fma_f64 v[90:91], v[141:142], s[16:17], -v[90:91]
	v_add_f64 v[74:75], v[76:77], v[74:75]
	v_add_f64 v[70:71], v[72:73], v[70:71]
	v_fma_f64 v[60:61], v[96:97], s[8:9], -v[60:61]
	v_fma_f64 v[72:73], v[96:97], s[36:37], v[185:186]
	v_mul_f64 v[94:95], v[173:174], s[36:37]
	v_add_f64 v[64:65], v[78:79], v[64:65]
	v_add_f64 v[78:79], v[187:188], v[82:83]
	v_fma_f64 v[76:77], v[149:150], s[14:15], v[66:67]
	v_add_f64 v[74:75], v[90:91], v[74:75]
	v_add_f64 v[70:71], v[80:81], v[70:71]
	v_fma_f64 v[80:81], v[98:99], s[34:35], -v[92:93]
	v_add_f64 v[66:67], v[60:61], v[62:63]
	v_fma_f64 v[82:83], v[145:146], s[42:43], v[94:95]
	v_mul_f64 v[183:184], v[177:178], s[42:43]
	v_add_f64 v[62:63], v[72:73], v[78:79]
	v_fma_f64 v[78:79], v[145:146], s[10:11], v[94:95]
	v_mul_f64 v[94:95], v[163:164], s[22:23]
	v_mul_f64 v[189:190], v[143:144], s[48:49]
	v_add_f64 v[72:73], v[80:81], v[74:75]
	v_mul_f64 v[80:81], v[179:180], s[22:23]
	v_mul_f64 v[193:194], v[161:162], s[42:43]
	v_fma_f64 v[199:200], v[131:132], s[36:37], v[183:184]
	v_mul_f64 v[92:93], v[139:140], s[18:19]
	v_mul_f64 v[203:204], v[165:166], s[48:49]
	v_fma_f64 v[197:198], v[159:160], s[30:31], -v[94:95]
	v_fma_f64 v[94:95], v[159:160], s[30:31], v[94:95]
	v_fma_f64 v[201:202], v[133:134], s[24:25], v[189:190]
	;; [unrolled: 1-line block ×3, first 2 shown]
	v_fma_f64 v[80:81], v[135:136], s[30:31], -v[80:81]
	v_fma_f64 v[205:206], v[157:158], s[36:37], -v[193:194]
	;; [unrolled: 1-line block ×3, first 2 shown]
	v_fma_f64 v[193:194], v[157:158], s[36:37], v[193:194]
	v_add_f64 v[197:198], v[36:37], v[197:198]
	v_add_f64 v[94:95], v[36:37], v[94:95]
	;; [unrolled: 1-line block ×6, first 2 shown]
	v_mul_f64 v[88:89], v[137:138], s[50:51]
	v_fma_f64 v[195:196], v[129:130], s[20:21], v[92:93]
	v_fma_f64 v[207:208], v[153:154], s[24:25], -v[203:204]
	v_add_f64 v[197:198], v[205:206], v[197:198]
	v_fma_f64 v[189:190], v[133:134], s[24:25], -v[189:190]
	v_add_f64 v[187:188], v[199:200], v[187:188]
	v_mul_f64 v[199:200], v[167:168], s[18:19]
	v_add_f64 v[80:81], v[183:184], v[80:81]
	v_fma_f64 v[203:204], v[153:154], s[24:25], v[203:204]
	v_add_f64 v[94:95], v[193:194], v[94:95]
	v_fma_f64 v[90:91], v[147:148], s[52:53], v[191:192]
	v_mul_f64 v[74:75], v[125:126], s[56:57]
	v_fma_f64 v[191:192], v[127:128], s[8:9], v[88:89]
	v_add_f64 v[183:184], v[201:202], v[187:188]
	v_mul_f64 v[187:188], v[169:170], s[8:9]
	v_fma_f64 v[201:202], v[151:152], s[20:21], -v[199:200]
	v_add_f64 v[193:194], v[207:208], v[197:198]
	v_fma_f64 v[92:93], v[129:130], s[20:21], -v[92:93]
	v_add_f64 v[80:81], v[189:190], v[80:81]
	v_fma_f64 v[197:198], v[151:152], s[20:21], v[199:200]
	v_add_f64 v[94:95], v[203:204], v[94:95]
	v_add_f64 v[183:184], v[195:196], v[183:184]
	;; [unrolled: 1-line block ×3, first 2 shown]
	v_fma_f64 v[68:69], v[96:97], s[36:37], -v[185:186]
	v_mul_f64 v[70:71], v[123:124], s[14:15]
	v_fma_f64 v[185:186], v[141:142], s[34:35], v[74:75]
	v_mul_f64 v[189:190], v[171:172], s[34:35]
	v_fma_f64 v[195:196], v[155:156], s[46:47], v[187:188]
	v_add_f64 v[193:194], v[201:202], v[193:194]
	v_fma_f64 v[88:89], v[127:128], s[8:9], -v[88:89]
	v_add_f64 v[80:81], v[92:93], v[80:81]
	v_add_f64 v[92:93], v[191:192], v[183:184]
	v_fma_f64 v[187:188], v[155:156], s[50:51], v[187:188]
	v_add_f64 v[94:95], v[197:198], v[94:95]
	v_add_f64 v[76:77], v[90:91], v[76:77]
	v_mul_f64 v[82:83], v[121:122], s[26:27]
	v_fma_f64 v[90:91], v[98:99], s[16:17], v[70:71]
	v_mul_f64 v[183:184], v[175:176], s[16:17]
	v_fma_f64 v[191:192], v[149:150], s[52:53], v[189:190]
	v_add_f64 v[193:194], v[195:196], v[193:194]
	v_fma_f64 v[74:75], v[141:142], s[34:35], -v[74:75]
	v_add_f64 v[80:81], v[88:89], v[80:81]
	v_add_f64 v[88:89], v[185:186], v[92:93]
	v_fma_f64 v[189:190], v[149:150], s[56:57], v[189:190]
	v_add_f64 v[94:95], v[187:188], v[94:95]
	v_mul_f64 v[92:93], v[173:174], s[38:39]
	v_fma_f64 v[185:186], v[147:148], s[54:55], v[183:184]
	v_add_f64 v[187:188], v[191:192], v[193:194]
	v_fma_f64 v[70:71], v[98:99], s[16:17], -v[70:71]
	v_add_f64 v[74:75], v[74:75], v[80:81]
	v_fma_f64 v[80:81], v[96:97], s[38:39], v[82:83]
	v_add_f64 v[88:89], v[90:91], v[88:89]
	v_fma_f64 v[183:184], v[147:148], s[14:15], v[183:184]
	;; [unrolled: 2-line block ×3, first 2 shown]
	v_add_f64 v[185:186], v[185:186], v[187:188]
	s_mov_b32 s59, 0x3fe0d888
	v_add_f64 v[187:188], v[70:71], v[74:75]
	v_add_f64 v[74:75], v[68:69], v[72:73]
	;; [unrolled: 1-line block ×4, first 2 shown]
	v_fma_f64 v[76:77], v[145:146], s[26:27], v[92:93]
	v_add_f64 v[80:81], v[183:184], v[94:95]
	v_mul_f64 v[88:89], v[179:180], s[10:11]
	s_mov_b32 s58, s18
	v_add_f64 v[68:69], v[90:91], v[185:186]
	v_mul_f64 v[90:91], v[177:178], s[58:59]
	v_mul_f64 v[191:192], v[161:162], s[58:59]
	;; [unrolled: 1-line block ×4, first 2 shown]
	v_add_f64 v[76:77], v[76:77], v[80:81]
	v_mul_f64 v[80:81], v[163:164], s[10:11]
	v_fma_f64 v[92:93], v[135:136], s[36:37], v[88:89]
	v_fma_f64 v[88:89], v[135:136], s[36:37], -v[88:89]
	v_fma_f64 v[189:190], v[131:132], s[20:21], v[90:91]
	v_fma_f64 v[203:204], v[157:158], s[20:21], -v[191:192]
	v_mul_f64 v[197:198], v[139:140], s[44:45]
	v_fma_f64 v[199:200], v[133:134], s[34:35], v[185:186]
	v_fma_f64 v[90:91], v[131:132], s[20:21], -v[90:91]
	v_fma_f64 v[193:194], v[159:160], s[36:37], -v[80:81]
	v_add_f64 v[92:93], v[38:39], v[92:93]
	v_add_f64 v[88:89], v[38:39], v[88:89]
	v_mul_f64 v[207:208], v[167:168], s[44:45]
	v_fma_f64 v[209:210], v[153:154], s[34:35], -v[201:202]
	v_fma_f64 v[205:206], v[129:130], s[38:39], v[197:198]
	v_fma_f64 v[185:186], v[133:134], s[34:35], -v[185:186]
	v_fma_f64 v[80:81], v[159:160], s[36:37], v[80:81]
	v_add_f64 v[193:194], v[36:37], v[193:194]
	v_add_f64 v[92:93], v[189:190], v[92:93]
	v_mul_f64 v[189:190], v[137:138], s[14:15]
	v_add_f64 v[88:89], v[90:91], v[88:89]
	v_mul_f64 v[90:91], v[169:170], s[16:17]
	v_fma_f64 v[82:83], v[96:97], s[38:39], -v[82:83]
	v_mul_f64 v[94:95], v[125:126], s[50:51]
	v_fma_f64 v[197:198], v[129:130], s[38:39], -v[197:198]
	v_add_f64 v[193:194], v[203:204], v[193:194]
	v_add_f64 v[92:93], v[199:200], v[92:93]
	v_fma_f64 v[203:204], v[151:152], s[38:39], -v[207:208]
	v_fma_f64 v[199:200], v[127:128], s[16:17], v[189:190]
	v_fma_f64 v[191:192], v[157:158], s[20:21], v[191:192]
	v_add_f64 v[80:81], v[36:37], v[80:81]
	v_add_f64 v[88:89], v[185:186], v[88:89]
	v_mul_f64 v[185:186], v[171:172], s[8:9]
	v_add_f64 v[193:194], v[209:210], v[193:194]
	v_add_f64 v[92:93], v[205:206], v[92:93]
	v_fma_f64 v[205:206], v[155:156], s[54:55], v[90:91]
	v_add_f64 v[78:79], v[82:83], v[187:188]
	v_mul_f64 v[82:83], v[123:124], s[48:49]
	v_fma_f64 v[195:196], v[141:142], s[8:9], v[94:95]
	v_fma_f64 v[189:190], v[127:128], s[16:17], -v[189:190]
	v_add_f64 v[80:81], v[191:192], v[80:81]
	v_add_f64 v[193:194], v[203:204], v[193:194]
	;; [unrolled: 1-line block ×3, first 2 shown]
	v_fma_f64 v[199:200], v[153:154], s[34:35], v[201:202]
	v_add_f64 v[88:89], v[197:198], v[88:89]
	v_mul_f64 v[191:192], v[175:176], s[24:25]
	v_fma_f64 v[197:198], v[149:150], s[46:47], v[185:186]
	v_fma_f64 v[187:188], v[98:99], s[24:25], v[82:83]
	v_fma_f64 v[94:95], v[141:142], s[8:9], -v[94:95]
	v_add_f64 v[193:194], v[205:206], v[193:194]
	v_add_f64 v[92:93], v[195:196], v[92:93]
	v_fma_f64 v[195:196], v[151:152], s[38:39], v[207:208]
	v_add_f64 v[80:81], v[199:200], v[80:81]
	v_add_f64 v[88:89], v[189:190], v[88:89]
	v_mul_f64 v[189:190], v[173:174], s[30:31]
	v_fma_f64 v[199:200], v[147:148], s[28:29], v[191:192]
	v_mul_f64 v[183:184], v[121:122], s[22:23]
	v_add_f64 v[193:194], v[197:198], v[193:194]
	v_fma_f64 v[90:91], v[155:156], s[14:15], v[90:91]
	v_add_f64 v[92:93], v[187:188], v[92:93]
	v_add_f64 v[80:81], v[195:196], v[80:81]
	;; [unrolled: 1-line block ×3, first 2 shown]
	v_fma_f64 v[94:95], v[145:146], s[40:41], v[189:190]
	v_fma_f64 v[82:83], v[98:99], s[24:25], -v[82:83]
	v_fma_f64 v[197:198], v[96:97], s[30:31], v[183:184]
	v_add_f64 v[187:188], v[199:200], v[193:194]
	v_mul_f64 v[193:194], v[179:180], s[46:47]
	v_fma_f64 v[183:184], v[96:97], s[30:31], -v[183:184]
	v_add_f64 v[90:91], v[90:91], v[80:81]
	v_fma_f64 v[185:186], v[149:150], s[50:51], v[185:186]
	v_mul_f64 v[195:196], v[161:162], s[14:15]
	v_add_f64 v[88:89], v[82:83], v[88:89]
	v_add_f64 v[82:83], v[197:198], v[92:93]
	;; [unrolled: 1-line block ×3, first 2 shown]
	v_mul_f64 v[94:95], v[163:164], s[46:47]
	v_mul_f64 v[92:93], v[177:178], s[14:15]
	v_fma_f64 v[187:188], v[135:136], s[8:9], v[193:194]
	v_fma_f64 v[191:192], v[147:148], s[48:49], v[191:192]
	v_add_f64 v[185:186], v[185:186], v[90:91]
	v_add_f64 v[90:91], v[183:184], v[88:89]
	v_mul_f64 v[88:89], v[143:144], s[42:43]
	v_mul_f64 v[201:202], v[165:166], s[42:43]
	v_fma_f64 v[197:198], v[159:160], s[8:9], -v[94:95]
	v_fma_f64 v[183:184], v[131:132], s[16:17], v[92:93]
	v_add_f64 v[187:188], v[38:39], v[187:188]
	v_fma_f64 v[203:204], v[157:158], s[16:17], -v[195:196]
	v_add_f64 v[185:186], v[191:192], v[185:186]
	v_mul_f64 v[191:192], v[139:140], s[28:29]
	v_fma_f64 v[199:200], v[133:134], s[36:37], v[88:89]
	v_mul_f64 v[209:210], v[167:168], s[28:29]
	v_add_f64 v[197:198], v[36:37], v[197:198]
	v_fma_f64 v[211:212], v[153:154], s[36:37], -v[201:202]
	v_add_f64 v[183:184], v[183:184], v[187:188]
	v_fma_f64 v[193:194], v[135:136], s[8:9], -v[193:194]
	v_mul_f64 v[205:206], v[137:138], s[44:45]
	v_fma_f64 v[207:208], v[129:130], s[24:25], v[191:192]
	v_mul_f64 v[213:214], v[169:170], s[38:39]
	v_fma_f64 v[215:216], v[151:152], s[24:25], -v[209:210]
	v_add_f64 v[197:198], v[203:204], v[197:198]
	v_fma_f64 v[92:93], v[131:132], s[16:17], -v[92:93]
	v_add_f64 v[183:184], v[199:200], v[183:184]
	v_add_f64 v[193:194], v[38:39], v[193:194]
	v_mul_f64 v[199:200], v[125:126], s[18:19]
	v_fma_f64 v[203:204], v[127:128], s[38:39], v[205:206]
	v_mul_f64 v[217:218], v[171:172], s[20:21]
	v_fma_f64 v[219:220], v[155:156], s[26:27], v[213:214]
	v_add_f64 v[197:198], v[211:212], v[197:198]
	v_fma_f64 v[88:89], v[133:134], s[36:37], -v[88:89]
	v_add_f64 v[183:184], v[207:208], v[183:184]
	v_add_f64 v[92:93], v[92:93], v[193:194]
	v_mul_f64 v[207:208], v[123:124], s[40:41]
	v_fma_f64 v[211:212], v[141:142], s[20:21], v[199:200]
	v_fma_f64 v[191:192], v[129:130], s[24:25], -v[191:192]
	v_fma_f64 v[94:95], v[159:160], s[8:9], v[94:95]
	v_add_f64 v[193:194], v[215:216], v[197:198]
	v_fma_f64 v[215:216], v[149:150], s[58:59], v[217:218]
	v_add_f64 v[183:184], v[203:204], v[183:184]
	v_mul_f64 v[203:204], v[175:176], s[30:31]
	v_add_f64 v[88:89], v[88:89], v[92:93]
	v_mul_f64 v[187:188], v[121:122], s[52:53]
	v_fma_f64 v[197:198], v[98:99], s[30:31], v[207:208]
	v_fma_f64 v[205:206], v[127:128], s[38:39], -v[205:206]
	v_add_f64 v[92:93], v[219:220], v[193:194]
	v_mul_f64 v[193:194], v[173:174], s[34:35]
	v_add_f64 v[183:184], v[211:212], v[183:184]
	v_fma_f64 v[211:212], v[147:148], s[22:23], v[203:204]
	v_fma_f64 v[195:196], v[157:158], s[16:17], v[195:196]
	v_add_f64 v[94:95], v[36:37], v[94:95]
	v_add_f64 v[88:89], v[191:192], v[88:89]
	v_fma_f64 v[189:190], v[145:146], s[22:23], v[189:190]
	v_add_f64 v[92:93], v[215:216], v[92:93]
	v_fma_f64 v[191:192], v[96:97], s[34:35], v[187:188]
	;; [unrolled: 2-line block ×3, first 2 shown]
	v_fma_f64 v[199:200], v[141:142], s[20:21], -v[199:200]
	v_fma_f64 v[201:202], v[153:154], s[36:37], v[201:202]
	v_add_f64 v[195:196], v[195:196], v[94:95]
	v_add_f64 v[205:206], v[205:206], v[88:89]
	;; [unrolled: 1-line block ×5, first 2 shown]
	v_fma_f64 v[183:184], v[98:99], s[30:31], -v[207:208]
	v_fma_f64 v[185:186], v[151:152], s[24:25], v[209:210]
	v_mul_f64 v[189:190], v[179:180], s[44:45]
	v_add_f64 v[191:192], v[201:202], v[195:196]
	v_add_f64 v[195:196], v[199:200], v[205:206]
	;; [unrolled: 1-line block ×3, first 2 shown]
	v_mul_f64 v[197:198], v[163:164], s[44:45]
	v_fma_f64 v[199:200], v[155:156], s[44:45], v[213:214]
	v_mul_f64 v[201:202], v[177:178], s[22:23]
	v_add_f64 v[50:51], v[38:39], v[50:51]
	v_fma_f64 v[205:206], v[135:136], s[38:39], v[189:190]
	v_add_f64 v[185:186], v[185:186], v[191:192]
	v_add_f64 v[183:184], v[183:184], v[195:196]
	v_mul_f64 v[195:196], v[161:162], s[22:23]
	v_fma_f64 v[207:208], v[159:160], s[38:39], -v[197:198]
	v_add_f64 v[48:49], v[36:37], v[48:49]
	v_fma_f64 v[191:192], v[149:150], s[18:19], v[217:218]
	v_mul_f64 v[209:210], v[143:144], s[54:55]
	v_fma_f64 v[211:212], v[131:132], s[30:31], v[201:202]
	v_add_f64 v[205:206], v[38:39], v[205:206]
	v_add_f64 v[185:186], v[199:200], v[185:186]
	v_fma_f64 v[199:200], v[147:148], s[40:41], v[203:204]
	v_mul_f64 v[203:204], v[165:166], s[54:55]
	v_fma_f64 v[213:214], v[157:158], s[30:31], -v[195:196]
	v_add_f64 v[207:208], v[36:37], v[207:208]
	v_add_f64 v[46:47], v[46:47], v[50:51]
	;; [unrolled: 1-line block ×3, first 2 shown]
	v_mul_f64 v[215:216], v[139:140], s[42:43]
	v_fma_f64 v[217:218], v[133:134], s[16:17], v[209:210]
	v_add_f64 v[205:206], v[211:212], v[205:206]
	v_add_f64 v[185:186], v[191:192], v[185:186]
	v_mul_f64 v[191:192], v[167:168], s[42:43]
	v_fma_f64 v[211:212], v[153:154], s[16:17], -v[203:204]
	v_fma_f64 v[189:190], v[135:136], s[38:39], -v[189:190]
	v_add_f64 v[207:208], v[213:214], v[207:208]
	v_add_f64 v[42:43], v[42:43], v[46:47]
	v_add_f64 v[40:41], v[40:41], v[44:45]
	v_mul_f64 v[213:214], v[137:138], s[52:53]
	v_fma_f64 v[219:220], v[129:130], s[36:37], v[215:216]
	v_add_f64 v[205:206], v[217:218], v[205:206]
	v_mul_f64 v[217:218], v[169:170], s[34:35]
	v_fma_f64 v[221:222], v[151:152], s[36:37], -v[191:192]
	v_fma_f64 v[201:202], v[131:132], s[30:31], -v[201:202]
	v_add_f64 v[189:190], v[38:39], v[189:190]
	v_add_f64 v[207:208], v[211:212], v[207:208]
	;; [unrolled: 1-line block ×4, first 2 shown]
	v_mul_f64 v[211:212], v[125:126], s[48:49]
	v_fma_f64 v[223:224], v[127:128], s[34:35], v[213:214]
	v_add_f64 v[205:206], v[219:220], v[205:206]
	v_mul_f64 v[219:220], v[171:172], s[24:25]
	v_fma_f64 v[225:226], v[155:156], s[56:57], v[217:218]
	v_fma_f64 v[209:210], v[133:134], s[16:17], -v[209:210]
	v_add_f64 v[189:190], v[201:202], v[189:190]
	v_add_f64 v[201:202], v[221:222], v[207:208]
	;; [unrolled: 1-line block ×4, first 2 shown]
	v_mul_f64 v[207:208], v[123:124], s[46:47]
	v_fma_f64 v[221:222], v[141:142], s[24:25], v[211:212]
	v_add_f64 v[205:206], v[223:224], v[205:206]
	v_mul_f64 v[223:224], v[175:176], s[8:9]
	v_fma_f64 v[227:228], v[149:150], s[28:29], v[219:220]
	v_fma_f64 v[215:216], v[129:130], s[36:37], -v[215:216]
	v_add_f64 v[189:190], v[209:210], v[189:190]
	v_add_f64 v[201:202], v[225:226], v[201:202]
	;; [unrolled: 1-line block ×4, first 2 shown]
	v_fma_f64 v[187:188], v[96:97], s[34:35], -v[187:188]
	v_mul_f64 v[209:210], v[121:122], s[18:19]
	v_fma_f64 v[225:226], v[98:99], s[8:9], v[207:208]
	v_add_f64 v[205:206], v[221:222], v[205:206]
	v_mul_f64 v[221:222], v[173:174], s[20:21]
	v_fma_f64 v[229:230], v[147:148], s[50:51], v[223:224]
	v_fma_f64 v[213:214], v[127:128], s[34:35], -v[213:214]
	v_add_f64 v[189:190], v[215:216], v[189:190]
	v_add_f64 v[201:202], v[227:228], v[201:202]
	v_fma_f64 v[193:194], v[145:146], s[52:53], v[193:194]
	v_add_f64 v[199:200], v[199:200], v[185:186]
	v_add_f64 v[14:15], v[106:107], v[14:15]
	;; [unrolled: 1-line block ×3, first 2 shown]
	v_fma_f64 v[215:216], v[96:97], s[20:21], v[209:210]
	v_add_f64 v[205:206], v[225:226], v[205:206]
	v_fma_f64 v[225:226], v[145:146], s[58:59], v[221:222]
	v_fma_f64 v[211:212], v[141:142], s[24:25], -v[211:212]
	v_add_f64 v[213:214], v[213:214], v[189:190]
	v_add_f64 v[201:202], v[229:230], v[201:202]
	;; [unrolled: 1-line block ×4, first 2 shown]
	v_fma_f64 v[193:194], v[159:160], s[38:39], v[197:198]
	v_add_f64 v[14:15], v[114:115], v[14:15]
	v_add_f64 v[20:21], v[112:113], v[20:21]
	;; [unrolled: 1-line block ×3, first 2 shown]
	v_fma_f64 v[197:198], v[98:99], s[8:9], -v[207:208]
	v_mul_f64 v[199:200], v[179:180], s[56:57]
	v_add_f64 v[205:206], v[211:212], v[213:214]
	v_add_f64 v[187:188], v[225:226], v[201:202]
	v_fma_f64 v[195:196], v[157:158], s[30:31], v[195:196]
	v_mul_f64 v[201:202], v[163:164], s[56:57]
	v_add_f64 v[193:194], v[36:37], v[193:194]
	v_add_f64 v[14:15], v[118:119], v[14:15]
	;; [unrolled: 1-line block ×3, first 2 shown]
	v_fma_f64 v[207:208], v[96:97], s[20:21], -v[209:210]
	v_mul_f64 v[209:210], v[177:178], s[46:47]
	v_fma_f64 v[211:212], v[135:136], s[34:35], v[199:200]
	v_add_f64 v[197:198], v[197:198], v[205:206]
	v_fma_f64 v[203:204], v[153:154], s[16:17], v[203:204]
	v_mul_f64 v[205:206], v[161:162], s[46:47]
	v_fma_f64 v[213:214], v[159:160], s[34:35], -v[201:202]
	v_add_f64 v[193:194], v[195:196], v[193:194]
	v_add_f64 v[14:15], v[110:111], v[14:15]
	;; [unrolled: 1-line block ×3, first 2 shown]
	v_fma_f64 v[215:216], v[131:132], s[8:9], v[209:210]
	v_add_f64 v[211:212], v[38:39], v[211:212]
	v_fma_f64 v[191:192], v[151:152], s[36:37], v[191:192]
	v_mul_f64 v[225:226], v[165:166], s[22:23]
	v_fma_f64 v[227:228], v[157:158], s[8:9], -v[205:206]
	v_add_f64 v[213:214], v[36:37], v[213:214]
	v_add_f64 v[193:194], v[203:204], v[193:194]
	v_fma_f64 v[199:200], v[135:136], s[34:35], -v[199:200]
	v_add_f64 v[14:15], v[102:103], v[14:15]
	v_add_f64 v[20:21], v[100:101], v[20:21]
	v_mul_f64 v[195:196], v[143:144], s[22:23]
	v_add_f64 v[211:212], v[215:216], v[211:212]
	v_fma_f64 v[215:216], v[155:156], s[52:53], v[217:218]
	v_mul_f64 v[217:218], v[167:168], s[14:15]
	v_fma_f64 v[231:232], v[153:154], s[30:31], -v[225:226]
	v_add_f64 v[213:214], v[227:228], v[213:214]
	v_add_f64 v[191:192], v[191:192], v[193:194]
	v_fma_f64 v[209:210], v[131:132], s[8:9], -v[209:210]
	v_add_f64 v[199:200], v[38:39], v[199:200]
	v_add_f64 v[14:15], v[54:55], v[14:15]
	;; [unrolled: 1-line block ×3, first 2 shown]
	v_mul_f64 v[203:204], v[139:140], s[14:15]
	v_fma_f64 v[229:230], v[133:134], s[30:31], v[195:196]
	v_mul_f64 v[227:228], v[137:138], s[58:59]
	v_fma_f64 v[233:234], v[151:152], s[16:17], -v[217:218]
	v_add_f64 v[213:214], v[231:232], v[213:214]
	v_add_f64 v[191:192], v[215:216], v[191:192]
	v_mul_f64 v[215:216], v[125:126], s[42:43]
	v_fma_f64 v[201:202], v[159:160], s[34:35], v[201:202]
	v_fma_f64 v[195:196], v[133:134], s[30:31], -v[195:196]
	v_mul_f64 v[179:180], v[179:180], s[48:49]
	v_add_f64 v[199:200], v[209:210], v[199:200]
	v_add_f64 v[14:15], v[18:19], v[14:15]
	;; [unrolled: 1-line block ×3, first 2 shown]
	v_fma_f64 v[193:194], v[129:130], s[16:17], v[203:204]
	v_fma_f64 v[231:232], v[127:128], s[20:21], v[227:228]
	v_add_f64 v[213:214], v[233:234], v[213:214]
	v_fma_f64 v[233:234], v[141:142], s[36:37], v[215:216]
	v_fma_f64 v[209:210], v[141:142], s[36:37], -v[215:216]
	v_fma_f64 v[215:216], v[127:128], s[20:21], -v[227:228]
	v_fma_f64 v[205:206], v[157:158], s[8:9], v[205:206]
	v_add_f64 v[201:202], v[36:37], v[201:202]
	v_fma_f64 v[203:204], v[129:130], s[16:17], -v[203:204]
	v_mul_f64 v[177:178], v[177:178], s[56:57]
	v_fma_f64 v[227:228], v[135:136], s[24:25], v[179:180]
	v_add_f64 v[195:196], v[195:196], v[199:200]
	v_add_f64 v[10:11], v[10:11], v[14:15]
	;; [unrolled: 1-line block ×4, first 2 shown]
	v_fma_f64 v[219:220], v[149:150], s[48:49], v[219:220]
	v_mul_f64 v[229:230], v[169:170], s[20:21]
	v_fma_f64 v[199:200], v[153:154], s[30:31], v[225:226]
	v_add_f64 v[201:202], v[205:206], v[201:202]
	v_mul_f64 v[143:144], v[143:144], s[44:45]
	v_fma_f64 v[205:206], v[131:132], s[34:35], v[177:178]
	v_add_f64 v[225:226], v[38:39], v[227:228]
	v_add_f64 v[195:196], v[203:204], v[195:196]
	;; [unrolled: 1-line block ×4, first 2 shown]
	v_fma_f64 v[235:236], v[155:156], s[18:19], v[229:230]
	v_add_f64 v[191:192], v[219:220], v[191:192]
	v_mul_f64 v[219:220], v[123:124], s[26:27]
	v_fma_f64 v[203:204], v[151:152], s[16:17], v[217:218]
	v_add_f64 v[48:49], v[199:200], v[201:202]
	v_mul_f64 v[50:51], v[139:140], s[46:47]
	v_fma_f64 v[139:140], v[133:134], s[38:39], v[143:144]
	v_add_f64 v[199:200], v[205:206], v[225:226]
	v_add_f64 v[195:196], v[215:216], v[195:196]
	;; [unrolled: 1-line block ×4, first 2 shown]
	buffer_load_dword v0, off, s[60:63], 0 offset:4 ; 4-byte Folded Reload
	v_add_f64 v[193:194], v[193:194], v[211:212]
	v_fma_f64 v[211:212], v[147:148], s[46:47], v[223:224]
	v_mul_f64 v[223:224], v[171:172], s[36:37]
	v_add_f64 v[213:214], v[235:236], v[213:214]
	v_fma_f64 v[235:236], v[98:99], s[38:39], v[219:220]
	v_fma_f64 v[219:220], v[98:99], s[38:39], -v[219:220]
	v_fma_f64 v[201:202], v[155:156], s[58:59], v[229:230]
	v_add_f64 v[44:45], v[203:204], v[48:49]
	v_mul_f64 v[46:47], v[137:138], s[10:11]
	v_add_f64 v[137:138], v[139:140], v[199:200]
	v_add_f64 v[139:140], v[209:210], v[195:196]
	v_mul_f64 v[104:105], v[163:164], s[48:49]
	v_add_f64 v[193:194], v[231:232], v[193:194]
	v_mul_f64 v[231:232], v[175:176], s[38:39]
	v_fma_f64 v[48:49], v[129:130], s[8:9], v[50:51]
	v_fma_f64 v[195:196], v[149:150], s[42:43], v[223:224]
	v_add_f64 v[40:41], v[201:202], v[44:45]
	v_mul_f64 v[42:43], v[125:126], s[22:23]
	v_add_f64 v[125:126], v[219:220], v[139:140]
	v_fma_f64 v[135:136], v[135:136], s[24:25], -v[179:180]
	v_mul_f64 v[139:140], v[161:162], s[56:57]
	v_fma_f64 v[112:113], v[159:160], s[24:25], v[104:105]
	v_fma_f64 v[104:105], v[159:160], s[24:25], -v[104:105]
	v_add_f64 v[191:192], v[211:212], v[191:192]
	v_mul_f64 v[211:212], v[121:122], s[28:29]
	v_add_f64 v[48:49], v[48:49], v[137:138]
	v_fma_f64 v[137:138], v[147:148], s[26:27], v[231:232]
	v_add_f64 v[22:23], v[195:196], v[40:41]
	v_mul_f64 v[114:115], v[165:166], s[44:45]
	v_fma_f64 v[131:132], v[131:132], s[34:35], -v[177:178]
	v_add_f64 v[38:39], v[38:39], v[135:136]
	v_fma_f64 v[135:136], v[157:158], s[34:35], v[139:140]
	v_add_f64 v[112:113], v[36:37], v[112:113]
	v_fma_f64 v[116:117], v[157:158], s[34:35], -v[139:140]
	v_add_f64 v[36:37], v[36:37], v[104:105]
	v_add_f64 v[233:234], v[233:234], v[193:194]
	;; [unrolled: 1-line block ×3, first 2 shown]
	v_fma_f64 v[197:198], v[96:97], s[24:25], v[211:212]
	v_fma_f64 v[211:212], v[96:97], s[24:25], -v[211:212]
	v_add_f64 v[22:23], v[137:138], v[22:23]
	v_mul_f64 v[137:138], v[167:168], s[46:47]
	v_fma_f64 v[104:105], v[133:134], s[38:39], -v[143:144]
	v_add_f64 v[38:39], v[131:132], v[38:39]
	v_fma_f64 v[118:119], v[153:154], s[38:39], v[114:115]
	v_add_f64 v[108:109], v[135:136], v[112:113]
	v_fma_f64 v[110:111], v[153:154], s[38:39], -v[114:115]
	v_add_f64 v[36:37], v[116:117], v[36:37]
	v_fma_f64 v[44:45], v[127:128], s[36:37], v[46:47]
	v_add_f64 v[12:13], v[211:212], v[125:126]
	v_mul_f64 v[125:126], v[169:170], s[36:37]
	v_fma_f64 v[50:51], v[129:130], s[8:9], -v[50:51]
	v_add_f64 v[38:39], v[104:105], v[38:39]
	v_fma_f64 v[104:105], v[151:152], s[8:9], v[137:138]
	v_add_f64 v[100:101], v[118:119], v[108:109]
	v_fma_f64 v[102:103], v[151:152], s[8:9], -v[137:138]
	v_add_f64 v[36:37], v[110:111], v[36:37]
	v_mul_f64 v[40:41], v[123:124], s[18:19]
	v_fma_f64 v[123:124], v[141:142], s[30:31], v[42:43]
	v_add_f64 v[44:45], v[44:45], v[48:49]
	v_mul_f64 v[106:107], v[171:172], s[30:31]
	v_fma_f64 v[46:47], v[127:128], s[36:37], -v[46:47]
	v_add_f64 v[38:39], v[50:51], v[38:39]
	v_fma_f64 v[50:51], v[155:156], s[10:11], v[125:126]
	v_add_f64 v[52:53], v[104:105], v[100:101]
	v_fma_f64 v[54:55], v[155:156], s[42:43], v[125:126]
	v_add_f64 v[36:37], v[102:103], v[36:37]
	v_add_f64 v[44:45], v[123:124], v[44:45]
	v_mul_f64 v[123:124], v[175:176], s[20:21]
	v_fma_f64 v[42:43], v[141:142], s[30:31], -v[42:43]
	v_add_f64 v[38:39], v[46:47], v[38:39]
	v_fma_f64 v[46:47], v[149:150], s[22:23], v[106:107]
	v_add_f64 v[18:19], v[50:51], v[52:53]
	v_fma_f64 v[237:238], v[149:150], s[10:11], v[223:224]
	v_fma_f64 v[20:21], v[149:150], s[40:41], v[106:107]
	v_add_f64 v[36:37], v[54:55], v[36:37]
	v_mul_f64 v[84:85], v[121:122], s[14:15]
	v_fma_f64 v[86:87], v[98:99], s[20:21], v[40:41]
	v_mul_f64 v[121:122], v[173:174], s[16:17]
	v_fma_f64 v[40:41], v[98:99], s[20:21], -v[40:41]
	v_add_f64 v[38:39], v[42:43], v[38:39]
	v_fma_f64 v[42:43], v[147:148], s[18:19], v[123:124]
	v_add_f64 v[14:15], v[46:47], v[18:19]
	v_mul_f64 v[239:240], v[173:174], s[24:25]
	v_fma_f64 v[221:222], v[145:146], s[18:19], v[221:222]
	v_fma_f64 v[241:242], v[147:148], s[44:45], v[231:232]
	v_add_f64 v[213:214], v[237:238], v[213:214]
	v_fma_f64 v[16:17], v[147:148], s[58:59], v[123:124]
	v_add_f64 v[18:19], v[20:21], v[36:37]
	v_fma_f64 v[20:21], v[96:97], s[16:17], -v[84:85]
	v_add_f64 v[36:37], v[40:41], v[38:39]
	v_fma_f64 v[38:39], v[145:146], s[14:15], v[121:122]
	v_add_f64 v[14:15], v[42:43], v[14:15]
	v_fma_f64 v[48:49], v[145:146], s[28:29], v[239:240]
	v_add_f64 v[191:192], v[221:222], v[191:192]
	v_add_f64 v[207:208], v[235:236], v[233:234]
	v_fma_f64 v[221:222], v[145:146], s[48:49], v[239:240]
	v_add_f64 v[213:214], v[241:242], v[213:214]
	v_fma_f64 v[40:41], v[96:97], s[16:17], v[84:85]
	;; [unrolled: 2-line block ×3, first 2 shown]
	v_add_f64 v[18:19], v[16:17], v[18:19]
	v_add_f64 v[4:5], v[20:21], v[36:37]
	;; [unrolled: 1-line block ×4, first 2 shown]
	s_waitcnt vmcnt(0)
	v_lshl_add_u32 v0, v249, 4, v0
	v_add_f64 v[16:17], v[197:198], v[207:208]
	v_add_f64 v[14:15], v[221:222], v[213:214]
	;; [unrolled: 1-line block ×4, first 2 shown]
	ds_write_b128 v0, v[6:9]
	ds_write_b128 v0, v[2:5] offset:16
	ds_write_b128 v0, v[10:13] offset:32
	;; [unrolled: 1-line block ×16, first 2 shown]
.LBB0_13:
	s_or_b64 exec, exec, s[4:5]
	s_waitcnt lgkmcnt(0)
	s_barrier
	ds_read_b128 v[0:3], v182 offset:272
	ds_read_b128 v[4:7], v182 offset:544
	;; [unrolled: 1-line block ×3, first 2 shown]
	ds_read_b128 v[12:15], v182
	s_waitcnt lgkmcnt(3)
	v_mul_f64 v[16:17], v[34:35], v[2:3]
	v_mul_f64 v[18:19], v[34:35], v[0:1]
	s_waitcnt lgkmcnt(2)
	v_mul_f64 v[20:21], v[30:31], v[6:7]
	v_mul_f64 v[22:23], v[30:31], v[4:5]
	;; [unrolled: 3-line block ×3, first 2 shown]
	v_fma_f64 v[0:1], v[32:33], v[0:1], v[16:17]
	v_fma_f64 v[2:3], v[32:33], v[2:3], -v[18:19]
	v_fma_f64 v[4:5], v[28:29], v[4:5], v[20:21]
	v_fma_f64 v[6:7], v[28:29], v[6:7], -v[22:23]
	v_fma_f64 v[8:9], v[24:25], v[8:9], v[30:31]
	v_fma_f64 v[10:11], v[24:25], v[10:11], -v[26:27]
	s_waitcnt lgkmcnt(0)
	v_add_f64 v[16:17], v[12:13], -v[4:5]
	v_add_f64 v[18:19], v[14:15], -v[6:7]
	;; [unrolled: 1-line block ×4, first 2 shown]
	v_fma_f64 v[12:13], v[12:13], 2.0, -v[16:17]
	v_fma_f64 v[14:15], v[14:15], 2.0, -v[18:19]
	;; [unrolled: 1-line block ×4, first 2 shown]
	v_add_f64 v[0:1], v[16:17], v[6:7]
	v_add_f64 v[2:3], v[18:19], -v[4:5]
	v_add_f64 v[4:5], v[12:13], -v[8:9]
	;; [unrolled: 1-line block ×3, first 2 shown]
	v_fma_f64 v[8:9], v[16:17], 2.0, -v[0:1]
	v_fma_f64 v[10:11], v[18:19], 2.0, -v[2:3]
	v_fma_f64 v[12:13], v[12:13], 2.0, -v[4:5]
	v_fma_f64 v[14:15], v[14:15], 2.0, -v[6:7]
	ds_write_b128 v181, v[0:3] offset:816
	ds_write_b128 v181, v[8:11] offset:272
	;; [unrolled: 1-line block ×3, first 2 shown]
	ds_write_b128 v181, v[12:15]
	s_waitcnt lgkmcnt(0)
	s_barrier
	s_and_b64 exec, exec, vcc
	s_cbranch_execz .LBB0_15
; %bb.14:
	buffer_load_dword v4, off, s[60:63], 0  ; 4-byte Folded Reload
	global_load_dwordx4 v[0:3], v254, s[6:7]
	v_mad_u64_u32 v[8:9], s[4:5], s2, v120, 0
	v_mad_u64_u32 v[10:11], s[4:5], s0, v253, 0
	v_or_b32_e32 v18, 4, v253
	v_mad_u64_u32 v[14:15], s[2:3], s3, v120, v[9:10]
	v_mov_b32_e32 v9, v14
	s_waitcnt vmcnt(1)
	ds_read_b128 v[4:7], v4
	s_waitcnt vmcnt(0) lgkmcnt(0)
	v_mul_f64 v[12:13], v[6:7], v[2:3]
	v_mul_f64 v[2:3], v[4:5], v[2:3]
	v_fma_f64 v[4:5], v[4:5], v[0:1], v[12:13]
	v_fma_f64 v[0:1], v[0:1], v[6:7], -v[2:3]
	v_mad_u64_u32 v[15:16], s[2:3], s1, v253, v[11:12]
	s_mov_b32 s2, 0x1e1e1e1e
	s_mov_b32 s3, 0x3f8e1e1e
	v_lshlrev_b64 v[6:7], 4, v[8:9]
	v_mov_b32_e32 v11, v15
	v_mul_f64 v[2:3], v[4:5], s[2:3]
	v_mul_f64 v[4:5], v[0:1], s[2:3]
	v_mov_b32_e32 v12, s13
	v_lshlrev_b64 v[8:9], 4, v[10:11]
	v_add_co_u32_e32 v0, vcc, s12, v6
	v_addc_co_u32_e32 v1, vcc, v12, v7, vcc
	v_add_co_u32_e32 v6, vcc, v0, v8
	v_addc_co_u32_e32 v7, vcc, v1, v9, vcc
	global_store_dwordx4 v[6:7], v[2:5], off
	global_load_dwordx4 v[2:5], v254, s[6:7] offset:64
	ds_read_b128 v[6:9], v181 offset:64
	ds_read_b128 v[10:13], v181 offset:128
	v_mad_u64_u32 v[16:17], s[4:5], s0, v18, 0
	s_waitcnt vmcnt(0) lgkmcnt(1)
	v_mul_f64 v[14:15], v[8:9], v[4:5]
	v_mul_f64 v[4:5], v[6:7], v[4:5]
	v_fma_f64 v[6:7], v[6:7], v[2:3], v[14:15]
	v_fma_f64 v[4:5], v[2:3], v[8:9], -v[4:5]
	v_mov_b32_e32 v2, v17
	v_mad_u64_u32 v[8:9], s[4:5], s1, v18, v[2:3]
	v_or_b32_e32 v14, 8, v253
	v_or_b32_e32 v18, 12, v253
	v_mov_b32_e32 v17, v8
	v_mul_f64 v[2:3], v[6:7], s[2:3]
	v_mul_f64 v[4:5], v[4:5], s[2:3]
	v_lshlrev_b64 v[6:7], 4, v[16:17]
	v_mad_u64_u32 v[8:9], s[4:5], s0, v14, 0
	v_add_co_u32_e32 v6, vcc, v0, v6
	v_addc_co_u32_e32 v7, vcc, v1, v7, vcc
	global_store_dwordx4 v[6:7], v[2:5], off
	global_load_dwordx4 v[2:5], v254, s[6:7] offset:128
	v_mad_u64_u32 v[16:17], s[4:5], s0, v18, 0
	s_waitcnt vmcnt(0) lgkmcnt(0)
	v_mul_f64 v[6:7], v[12:13], v[4:5]
	v_mul_f64 v[4:5], v[10:11], v[4:5]
	v_fma_f64 v[6:7], v[10:11], v[2:3], v[6:7]
	v_fma_f64 v[4:5], v[2:3], v[12:13], -v[4:5]
	v_mov_b32_e32 v2, v9
	v_mad_u64_u32 v[9:10], s[4:5], s1, v14, v[2:3]
	v_mul_f64 v[2:3], v[6:7], s[2:3]
	v_mul_f64 v[4:5], v[4:5], s[2:3]
	v_lshlrev_b64 v[6:7], 4, v[8:9]
	v_add_co_u32_e32 v6, vcc, v0, v6
	v_addc_co_u32_e32 v7, vcc, v1, v7, vcc
	global_store_dwordx4 v[6:7], v[2:5], off
	global_load_dwordx4 v[2:5], v254, s[6:7] offset:192
	ds_read_b128 v[6:9], v181 offset:192
	ds_read_b128 v[10:13], v181 offset:256
	s_waitcnt vmcnt(0) lgkmcnt(1)
	v_mul_f64 v[14:15], v[8:9], v[4:5]
	v_mul_f64 v[4:5], v[6:7], v[4:5]
	v_fma_f64 v[6:7], v[6:7], v[2:3], v[14:15]
	v_fma_f64 v[4:5], v[2:3], v[8:9], -v[4:5]
	v_mov_b32_e32 v2, v17
	v_mad_u64_u32 v[8:9], s[4:5], s1, v18, v[2:3]
	v_or_b32_e32 v14, 16, v253
	v_or_b32_e32 v18, 20, v253
	v_mov_b32_e32 v17, v8
	v_mul_f64 v[2:3], v[6:7], s[2:3]
	v_mul_f64 v[4:5], v[4:5], s[2:3]
	v_lshlrev_b64 v[6:7], 4, v[16:17]
	v_mad_u64_u32 v[8:9], s[4:5], s0, v14, 0
	v_add_co_u32_e32 v6, vcc, v0, v6
	v_addc_co_u32_e32 v7, vcc, v1, v7, vcc
	global_store_dwordx4 v[6:7], v[2:5], off
	global_load_dwordx4 v[2:5], v254, s[6:7] offset:256
	v_mad_u64_u32 v[16:17], s[4:5], s0, v18, 0
	s_waitcnt vmcnt(0) lgkmcnt(0)
	v_mul_f64 v[6:7], v[12:13], v[4:5]
	v_mul_f64 v[4:5], v[10:11], v[4:5]
	v_fma_f64 v[6:7], v[10:11], v[2:3], v[6:7]
	v_fma_f64 v[4:5], v[2:3], v[12:13], -v[4:5]
	v_mov_b32_e32 v2, v9
	v_mad_u64_u32 v[9:10], s[4:5], s1, v14, v[2:3]
	v_mul_f64 v[2:3], v[6:7], s[2:3]
	v_mul_f64 v[4:5], v[4:5], s[2:3]
	v_lshlrev_b64 v[6:7], 4, v[8:9]
	v_add_co_u32_e32 v6, vcc, v0, v6
	v_addc_co_u32_e32 v7, vcc, v1, v7, vcc
	global_store_dwordx4 v[6:7], v[2:5], off
	global_load_dwordx4 v[2:5], v254, s[6:7] offset:320
	ds_read_b128 v[6:9], v181 offset:320
	ds_read_b128 v[10:13], v181 offset:384
	;; [unrolled: 35-line block ×7, first 2 shown]
	s_waitcnt vmcnt(0) lgkmcnt(1)
	v_mul_f64 v[14:15], v[8:9], v[4:5]
	v_mul_f64 v[4:5], v[6:7], v[4:5]
	v_fma_f64 v[6:7], v[6:7], v[2:3], v[14:15]
	v_fma_f64 v[4:5], v[2:3], v[8:9], -v[4:5]
	v_mov_b32_e32 v2, v17
	v_mad_u64_u32 v[8:9], s[4:5], s1, v18, v[2:3]
	v_or_b32_e32 v14, 64, v253
	v_mov_b32_e32 v17, v8
	v_mul_f64 v[2:3], v[6:7], s[2:3]
	v_mul_f64 v[4:5], v[4:5], s[2:3]
	v_lshlrev_b64 v[6:7], 4, v[16:17]
	v_mad_u64_u32 v[8:9], s[4:5], s0, v14, 0
	v_add_co_u32_e32 v6, vcc, v0, v6
	v_addc_co_u32_e32 v7, vcc, v1, v7, vcc
	global_store_dwordx4 v[6:7], v[2:5], off
	global_load_dwordx4 v[2:5], v254, s[6:7] offset:1024
	s_waitcnt vmcnt(0) lgkmcnt(0)
	v_mul_f64 v[6:7], v[12:13], v[4:5]
	v_mul_f64 v[4:5], v[10:11], v[4:5]
	v_fma_f64 v[6:7], v[10:11], v[2:3], v[6:7]
	v_fma_f64 v[4:5], v[2:3], v[12:13], -v[4:5]
	v_mov_b32_e32 v2, v9
	v_mad_u64_u32 v[9:10], s[0:1], s1, v14, v[2:3]
	v_mul_f64 v[2:3], v[6:7], s[2:3]
	v_mul_f64 v[4:5], v[4:5], s[2:3]
	v_lshlrev_b64 v[6:7], 4, v[8:9]
	v_add_co_u32_e32 v0, vcc, v0, v6
	v_addc_co_u32_e32 v1, vcc, v1, v7, vcc
	global_store_dwordx4 v[0:1], v[2:5], off
.LBB0_15:
	s_endpgm
	.section	.rodata,"a",@progbits
	.p2align	6, 0x0
	.amdhsa_kernel bluestein_single_fwd_len68_dim1_dp_op_CI_CI
		.amdhsa_group_segment_fixed_size 16320
		.amdhsa_private_segment_fixed_size 36
		.amdhsa_kernarg_size 104
		.amdhsa_user_sgpr_count 6
		.amdhsa_user_sgpr_private_segment_buffer 1
		.amdhsa_user_sgpr_dispatch_ptr 0
		.amdhsa_user_sgpr_queue_ptr 0
		.amdhsa_user_sgpr_kernarg_segment_ptr 1
		.amdhsa_user_sgpr_dispatch_id 0
		.amdhsa_user_sgpr_flat_scratch_init 0
		.amdhsa_user_sgpr_private_segment_size 0
		.amdhsa_uses_dynamic_stack 0
		.amdhsa_system_sgpr_private_segment_wavefront_offset 1
		.amdhsa_system_sgpr_workgroup_id_x 1
		.amdhsa_system_sgpr_workgroup_id_y 0
		.amdhsa_system_sgpr_workgroup_id_z 0
		.amdhsa_system_sgpr_workgroup_info 0
		.amdhsa_system_vgpr_workitem_id 0
		.amdhsa_next_free_vgpr 256
		.amdhsa_next_free_sgpr 64
		.amdhsa_reserve_vcc 1
		.amdhsa_reserve_flat_scratch 0
		.amdhsa_float_round_mode_32 0
		.amdhsa_float_round_mode_16_64 0
		.amdhsa_float_denorm_mode_32 3
		.amdhsa_float_denorm_mode_16_64 3
		.amdhsa_dx10_clamp 1
		.amdhsa_ieee_mode 1
		.amdhsa_fp16_overflow 0
		.amdhsa_exception_fp_ieee_invalid_op 0
		.amdhsa_exception_fp_denorm_src 0
		.amdhsa_exception_fp_ieee_div_zero 0
		.amdhsa_exception_fp_ieee_overflow 0
		.amdhsa_exception_fp_ieee_underflow 0
		.amdhsa_exception_fp_ieee_inexact 0
		.amdhsa_exception_int_div_zero 0
	.end_amdhsa_kernel
	.text
.Lfunc_end0:
	.size	bluestein_single_fwd_len68_dim1_dp_op_CI_CI, .Lfunc_end0-bluestein_single_fwd_len68_dim1_dp_op_CI_CI
                                        ; -- End function
	.section	.AMDGPU.csdata,"",@progbits
; Kernel info:
; codeLenInByte = 19076
; NumSgprs: 68
; NumVgprs: 256
; ScratchSize: 36
; MemoryBound: 0
; FloatMode: 240
; IeeeMode: 1
; LDSByteSize: 16320 bytes/workgroup (compile time only)
; SGPRBlocks: 8
; VGPRBlocks: 63
; NumSGPRsForWavesPerEU: 68
; NumVGPRsForWavesPerEU: 256
; Occupancy: 1
; WaveLimiterHint : 1
; COMPUTE_PGM_RSRC2:SCRATCH_EN: 1
; COMPUTE_PGM_RSRC2:USER_SGPR: 6
; COMPUTE_PGM_RSRC2:TRAP_HANDLER: 0
; COMPUTE_PGM_RSRC2:TGID_X_EN: 1
; COMPUTE_PGM_RSRC2:TGID_Y_EN: 0
; COMPUTE_PGM_RSRC2:TGID_Z_EN: 0
; COMPUTE_PGM_RSRC2:TIDIG_COMP_CNT: 0
	.type	__hip_cuid_b9a91a1653b8f96c,@object ; @__hip_cuid_b9a91a1653b8f96c
	.section	.bss,"aw",@nobits
	.globl	__hip_cuid_b9a91a1653b8f96c
__hip_cuid_b9a91a1653b8f96c:
	.byte	0                               ; 0x0
	.size	__hip_cuid_b9a91a1653b8f96c, 1

	.ident	"AMD clang version 19.0.0git (https://github.com/RadeonOpenCompute/llvm-project roc-6.4.0 25133 c7fe45cf4b819c5991fe208aaa96edf142730f1d)"
	.section	".note.GNU-stack","",@progbits
	.addrsig
	.addrsig_sym __hip_cuid_b9a91a1653b8f96c
	.amdgpu_metadata
---
amdhsa.kernels:
  - .args:
      - .actual_access:  read_only
        .address_space:  global
        .offset:         0
        .size:           8
        .value_kind:     global_buffer
      - .actual_access:  read_only
        .address_space:  global
        .offset:         8
        .size:           8
        .value_kind:     global_buffer
      - .actual_access:  read_only
        .address_space:  global
        .offset:         16
        .size:           8
        .value_kind:     global_buffer
      - .actual_access:  read_only
        .address_space:  global
        .offset:         24
        .size:           8
        .value_kind:     global_buffer
      - .actual_access:  read_only
        .address_space:  global
        .offset:         32
        .size:           8
        .value_kind:     global_buffer
      - .offset:         40
        .size:           8
        .value_kind:     by_value
      - .address_space:  global
        .offset:         48
        .size:           8
        .value_kind:     global_buffer
      - .address_space:  global
        .offset:         56
        .size:           8
        .value_kind:     global_buffer
      - .address_space:  global
        .offset:         64
        .size:           8
        .value_kind:     global_buffer
      - .address_space:  global
        .offset:         72
        .size:           8
        .value_kind:     global_buffer
      - .offset:         80
        .size:           4
        .value_kind:     by_value
      - .address_space:  global
        .offset:         88
        .size:           8
        .value_kind:     global_buffer
      - .address_space:  global
        .offset:         96
        .size:           8
        .value_kind:     global_buffer
    .group_segment_fixed_size: 16320
    .kernarg_segment_align: 8
    .kernarg_segment_size: 104
    .language:       OpenCL C
    .language_version:
      - 2
      - 0
    .max_flat_workgroup_size: 255
    .name:           bluestein_single_fwd_len68_dim1_dp_op_CI_CI
    .private_segment_fixed_size: 36
    .sgpr_count:     68
    .sgpr_spill_count: 0
    .symbol:         bluestein_single_fwd_len68_dim1_dp_op_CI_CI.kd
    .uniform_work_group_size: 1
    .uses_dynamic_stack: false
    .vgpr_count:     256
    .vgpr_spill_count: 8
    .wavefront_size: 64
amdhsa.target:   amdgcn-amd-amdhsa--gfx906
amdhsa.version:
  - 1
  - 2
...

	.end_amdgpu_metadata
